;; amdgpu-corpus repo=ROCm/rocFFT kind=compiled arch=gfx1030 opt=O3
	.text
	.amdgcn_target "amdgcn-amd-amdhsa--gfx1030"
	.amdhsa_code_object_version 6
	.protected	fft_rtc_back_len578_factors_17_17_2_wgs_238_tpt_34_halfLds_sp_ip_CI_unitstride_sbrr_dirReg ; -- Begin function fft_rtc_back_len578_factors_17_17_2_wgs_238_tpt_34_halfLds_sp_ip_CI_unitstride_sbrr_dirReg
	.globl	fft_rtc_back_len578_factors_17_17_2_wgs_238_tpt_34_halfLds_sp_ip_CI_unitstride_sbrr_dirReg
	.p2align	8
	.type	fft_rtc_back_len578_factors_17_17_2_wgs_238_tpt_34_halfLds_sp_ip_CI_unitstride_sbrr_dirReg,@function
fft_rtc_back_len578_factors_17_17_2_wgs_238_tpt_34_halfLds_sp_ip_CI_unitstride_sbrr_dirReg: ; @fft_rtc_back_len578_factors_17_17_2_wgs_238_tpt_34_halfLds_sp_ip_CI_unitstride_sbrr_dirReg
; %bb.0:
	s_load_dwordx4 s[8:11], s[4:5], 0x0
	v_mul_u32_u24_e32 v1, 0x788, v0
	s_clause 0x1
	s_load_dwordx2 s[2:3], s[4:5], 0x50
	s_load_dwordx2 s[12:13], s[4:5], 0x18
	v_lshrrev_b32_e32 v2, 16, v1
	v_mov_b32_e32 v1, 0
	v_mad_u64_u32 v[20:21], null, s6, 7, v[2:3]
	v_mov_b32_e32 v21, v1
	v_mov_b32_e32 v3, 0
	;; [unrolled: 1-line block ×4, first 2 shown]
	s_waitcnt lgkmcnt(0)
	v_cmp_lt_u64_e64 s0, s[10:11], 2
	v_mov_b32_e32 v8, v21
	s_and_b32 vcc_lo, exec_lo, s0
	s_cbranch_vccnz .LBB0_8
; %bb.1:
	s_load_dwordx2 s[0:1], s[4:5], 0x10
	v_mov_b32_e32 v3, 0
	v_mov_b32_e32 v5, v20
	s_add_u32 s6, s12, 8
	v_mov_b32_e32 v4, 0
	v_mov_b32_e32 v6, v21
	s_addc_u32 s7, s13, 0
	s_mov_b64 s[16:17], 1
	s_waitcnt lgkmcnt(0)
	s_add_u32 s14, s0, 8
	s_addc_u32 s15, s1, 0
.LBB0_2:                                ; =>This Inner Loop Header: Depth=1
	s_load_dwordx2 s[18:19], s[14:15], 0x0
                                        ; implicit-def: $vgpr7_vgpr8
	s_mov_b32 s0, exec_lo
	s_waitcnt lgkmcnt(0)
	v_or_b32_e32 v2, s19, v6
	v_cmpx_ne_u64_e32 0, v[1:2]
	s_xor_b32 s1, exec_lo, s0
	s_cbranch_execz .LBB0_4
; %bb.3:                                ;   in Loop: Header=BB0_2 Depth=1
	v_cvt_f32_u32_e32 v2, s18
	v_cvt_f32_u32_e32 v7, s19
	s_sub_u32 s0, 0, s18
	s_subb_u32 s20, 0, s19
	v_fmac_f32_e32 v2, 0x4f800000, v7
	v_rcp_f32_e32 v2, v2
	v_mul_f32_e32 v2, 0x5f7ffffc, v2
	v_mul_f32_e32 v7, 0x2f800000, v2
	v_trunc_f32_e32 v7, v7
	v_fmac_f32_e32 v2, 0xcf800000, v7
	v_cvt_u32_f32_e32 v7, v7
	v_cvt_u32_f32_e32 v2, v2
	v_mul_lo_u32 v8, s0, v7
	v_mul_hi_u32 v9, s0, v2
	v_mul_lo_u32 v10, s20, v2
	v_add_nc_u32_e32 v8, v9, v8
	v_mul_lo_u32 v9, s0, v2
	v_add_nc_u32_e32 v8, v8, v10
	v_mul_hi_u32 v10, v2, v9
	v_mul_lo_u32 v11, v2, v8
	v_mul_hi_u32 v12, v2, v8
	v_mul_hi_u32 v13, v7, v9
	v_mul_lo_u32 v9, v7, v9
	v_mul_hi_u32 v14, v7, v8
	v_mul_lo_u32 v8, v7, v8
	v_add_co_u32 v10, vcc_lo, v10, v11
	v_add_co_ci_u32_e32 v11, vcc_lo, 0, v12, vcc_lo
	v_add_co_u32 v9, vcc_lo, v10, v9
	v_add_co_ci_u32_e32 v9, vcc_lo, v11, v13, vcc_lo
	v_add_co_ci_u32_e32 v10, vcc_lo, 0, v14, vcc_lo
	v_add_co_u32 v8, vcc_lo, v9, v8
	v_add_co_ci_u32_e32 v9, vcc_lo, 0, v10, vcc_lo
	v_add_co_u32 v2, vcc_lo, v2, v8
	v_add_co_ci_u32_e32 v7, vcc_lo, v7, v9, vcc_lo
	v_mul_hi_u32 v8, s0, v2
	v_mul_lo_u32 v10, s20, v2
	v_mul_lo_u32 v9, s0, v7
	v_add_nc_u32_e32 v8, v8, v9
	v_mul_lo_u32 v9, s0, v2
	v_add_nc_u32_e32 v8, v8, v10
	v_mul_hi_u32 v10, v2, v9
	v_mul_lo_u32 v11, v2, v8
	v_mul_hi_u32 v12, v2, v8
	v_mul_hi_u32 v13, v7, v9
	v_mul_lo_u32 v9, v7, v9
	v_mul_hi_u32 v14, v7, v8
	v_mul_lo_u32 v8, v7, v8
	v_add_co_u32 v10, vcc_lo, v10, v11
	v_add_co_ci_u32_e32 v11, vcc_lo, 0, v12, vcc_lo
	v_add_co_u32 v9, vcc_lo, v10, v9
	v_add_co_ci_u32_e32 v9, vcc_lo, v11, v13, vcc_lo
	v_add_co_ci_u32_e32 v10, vcc_lo, 0, v14, vcc_lo
	v_add_co_u32 v8, vcc_lo, v9, v8
	v_add_co_ci_u32_e32 v9, vcc_lo, 0, v10, vcc_lo
	v_add_co_u32 v2, vcc_lo, v2, v8
	v_add_co_ci_u32_e32 v11, vcc_lo, v7, v9, vcc_lo
	v_mul_hi_u32 v13, v5, v2
	v_mad_u64_u32 v[9:10], null, v6, v2, 0
	v_mad_u64_u32 v[7:8], null, v5, v11, 0
	v_mad_u64_u32 v[11:12], null, v6, v11, 0
	v_add_co_u32 v2, vcc_lo, v13, v7
	v_add_co_ci_u32_e32 v7, vcc_lo, 0, v8, vcc_lo
	v_add_co_u32 v2, vcc_lo, v2, v9
	v_add_co_ci_u32_e32 v2, vcc_lo, v7, v10, vcc_lo
	v_add_co_ci_u32_e32 v7, vcc_lo, 0, v12, vcc_lo
	v_add_co_u32 v2, vcc_lo, v2, v11
	v_add_co_ci_u32_e32 v9, vcc_lo, 0, v7, vcc_lo
	v_mul_lo_u32 v10, s19, v2
	v_mad_u64_u32 v[7:8], null, s18, v2, 0
	v_mul_lo_u32 v11, s18, v9
	v_sub_co_u32 v7, vcc_lo, v5, v7
	v_add3_u32 v8, v8, v11, v10
	v_sub_nc_u32_e32 v10, v6, v8
	v_subrev_co_ci_u32_e64 v10, s0, s19, v10, vcc_lo
	v_add_co_u32 v11, s0, v2, 2
	v_add_co_ci_u32_e64 v12, s0, 0, v9, s0
	v_sub_co_u32 v13, s0, v7, s18
	v_sub_co_ci_u32_e32 v8, vcc_lo, v6, v8, vcc_lo
	v_subrev_co_ci_u32_e64 v10, s0, 0, v10, s0
	v_cmp_le_u32_e32 vcc_lo, s18, v13
	v_cmp_eq_u32_e64 s0, s19, v8
	v_cndmask_b32_e64 v13, 0, -1, vcc_lo
	v_cmp_le_u32_e32 vcc_lo, s19, v10
	v_cndmask_b32_e64 v14, 0, -1, vcc_lo
	v_cmp_le_u32_e32 vcc_lo, s18, v7
	;; [unrolled: 2-line block ×3, first 2 shown]
	v_cndmask_b32_e64 v15, 0, -1, vcc_lo
	v_cmp_eq_u32_e32 vcc_lo, s19, v10
	v_cndmask_b32_e64 v7, v15, v7, s0
	v_cndmask_b32_e32 v10, v14, v13, vcc_lo
	v_add_co_u32 v13, vcc_lo, v2, 1
	v_add_co_ci_u32_e32 v14, vcc_lo, 0, v9, vcc_lo
	v_cmp_ne_u32_e32 vcc_lo, 0, v10
	v_cndmask_b32_e32 v8, v14, v12, vcc_lo
	v_cndmask_b32_e32 v10, v13, v11, vcc_lo
	v_cmp_ne_u32_e32 vcc_lo, 0, v7
	v_cndmask_b32_e32 v8, v9, v8, vcc_lo
	v_cndmask_b32_e32 v7, v2, v10, vcc_lo
.LBB0_4:                                ;   in Loop: Header=BB0_2 Depth=1
	s_andn2_saveexec_b32 s0, s1
	s_cbranch_execz .LBB0_6
; %bb.5:                                ;   in Loop: Header=BB0_2 Depth=1
	v_cvt_f32_u32_e32 v2, s18
	s_sub_i32 s1, 0, s18
	v_rcp_iflag_f32_e32 v2, v2
	v_mul_f32_e32 v2, 0x4f7ffffe, v2
	v_cvt_u32_f32_e32 v2, v2
	v_mul_lo_u32 v7, s1, v2
	v_mul_hi_u32 v7, v2, v7
	v_add_nc_u32_e32 v2, v2, v7
	v_mul_hi_u32 v2, v5, v2
	v_mul_lo_u32 v7, v2, s18
	v_add_nc_u32_e32 v8, 1, v2
	v_sub_nc_u32_e32 v7, v5, v7
	v_subrev_nc_u32_e32 v9, s18, v7
	v_cmp_le_u32_e32 vcc_lo, s18, v7
	v_cndmask_b32_e32 v7, v7, v9, vcc_lo
	v_cndmask_b32_e32 v2, v2, v8, vcc_lo
	v_cmp_le_u32_e32 vcc_lo, s18, v7
	v_add_nc_u32_e32 v8, 1, v2
	v_cndmask_b32_e32 v7, v2, v8, vcc_lo
	v_mov_b32_e32 v8, v1
.LBB0_6:                                ;   in Loop: Header=BB0_2 Depth=1
	s_or_b32 exec_lo, exec_lo, s0
	s_load_dwordx2 s[0:1], s[6:7], 0x0
	v_mul_lo_u32 v2, v8, s18
	v_mul_lo_u32 v11, v7, s19
	v_mad_u64_u32 v[9:10], null, v7, s18, 0
	s_add_u32 s16, s16, 1
	s_addc_u32 s17, s17, 0
	s_add_u32 s6, s6, 8
	s_addc_u32 s7, s7, 0
	;; [unrolled: 2-line block ×3, first 2 shown]
	v_add3_u32 v2, v10, v11, v2
	v_sub_co_u32 v5, vcc_lo, v5, v9
	v_sub_co_ci_u32_e32 v2, vcc_lo, v6, v2, vcc_lo
	s_waitcnt lgkmcnt(0)
	v_mul_lo_u32 v6, s1, v5
	v_mul_lo_u32 v2, s0, v2
	v_mad_u64_u32 v[3:4], null, s0, v5, v[3:4]
	v_cmp_ge_u64_e64 s0, s[16:17], s[10:11]
	s_and_b32 vcc_lo, exec_lo, s0
	v_add3_u32 v4, v6, v4, v2
	s_cbranch_vccnz .LBB0_8
; %bb.7:                                ;   in Loop: Header=BB0_2 Depth=1
	v_mov_b32_e32 v5, v7
	v_mov_b32_e32 v6, v8
	s_branch .LBB0_2
.LBB0_8:
	s_lshl_b64 s[0:1], s[10:11], 3
	v_mov_b32_e32 v21, 0
	s_add_u32 s0, s12, s0
	s_addc_u32 s1, s13, s1
	v_mov_b32_e32 v22, 0
	s_load_dwordx2 s[0:1], s[0:1], 0x0
	s_load_dwordx2 s[4:5], s[4:5], 0x20
                                        ; implicit-def: $vgpr38
                                        ; implicit-def: $vgpr36
                                        ; implicit-def: $vgpr28
                                        ; implicit-def: $vgpr24
                                        ; implicit-def: $vgpr17
                                        ; implicit-def: $vgpr13
                                        ; implicit-def: $vgpr9
                                        ; implicit-def: $vgpr11
                                        ; implicit-def: $vgpr19
                                        ; implicit-def: $vgpr30
                                        ; implicit-def: $vgpr32
                                        ; implicit-def: $vgpr34
                                        ; implicit-def: $vgpr26
                                        ; implicit-def: $vgpr15
	s_waitcnt lgkmcnt(0)
	v_mul_lo_u32 v5, s0, v8
	v_mul_lo_u32 v6, s1, v7
	v_mad_u64_u32 v[1:2], null, s0, v7, v[3:4]
	v_mul_hi_u32 v3, 0x7878788, v0
	v_cmp_gt_u64_e32 vcc_lo, s[4:5], v[7:8]
                                        ; implicit-def: $vgpr7
	v_add3_u32 v2, v6, v2, v5
                                        ; implicit-def: $vgpr5
	v_mul_u32_u24_e32 v4, 34, v3
	v_lshlrev_b64 v[2:3], 3, v[1:2]
	v_sub_nc_u32_e32 v0, v0, v4
	s_and_saveexec_b32 s1, vcc_lo
	s_cbranch_execz .LBB0_10
; %bb.9:
	v_mov_b32_e32 v1, 0
	v_lshlrev_b64 v[4:5], 3, v[0:1]
	v_add_co_u32 v1, s0, s2, v2
	v_add_co_ci_u32_e64 v6, s0, s3, v3, s0
	v_add_co_u32 v18, s0, v1, v4
	v_add_co_ci_u32_e64 v19, s0, v6, v5, s0
	s_clause 0x3
	global_load_dwordx2 v[21:22], v[18:19], off
	global_load_dwordx2 v[37:38], v[18:19], off offset:272
	global_load_dwordx2 v[35:36], v[18:19], off offset:544
	global_load_dwordx2 v[27:28], v[18:19], off offset:816
	v_add_co_u32 v31, s0, 0x800, v18
	v_add_co_ci_u32_e64 v32, s0, 0, v19, s0
	s_clause 0x7
	global_load_dwordx2 v[23:24], v[18:19], off offset:1088
	global_load_dwordx2 v[16:17], v[18:19], off offset:1360
	;; [unrolled: 1-line block ×8, first 2 shown]
	v_add_co_u32 v39, s0, 0x1000, v18
	v_add_co_ci_u32_e64 v40, s0, 0, v19, s0
	s_clause 0x4
	global_load_dwordx2 v[18:19], v[31:32], off offset:1216
	global_load_dwordx2 v[25:26], v[31:32], off offset:1488
	global_load_dwordx2 v[29:30], v[31:32], off offset:1760
	global_load_dwordx2 v[33:34], v[31:32], off offset:2032
	global_load_dwordx2 v[31:32], v[39:40], off offset:256
.LBB0_10:
	s_or_b32 exec_lo, exec_lo, s1
	s_waitcnt vmcnt(15)
	v_add_f32_e32 v1, v37, v21
	v_add_f32_e32 v39, v38, v22
	v_mul_hi_u32 v40, 0x24924925, v20
	s_waitcnt vmcnt(0)
	v_add_f32_e32 v42, v38, v32
	v_sub_f32_e32 v38, v38, v32
	v_add_f32_e32 v1, v35, v1
	v_add_f32_e32 v39, v36, v39
	;; [unrolled: 1-line block ×4, first 2 shown]
	v_sub_f32_e32 v47, v27, v29
	v_add_f32_e32 v1, v27, v1
	v_add_f32_e32 v39, v28, v39
	v_mul_f32_e32 v27, 0xbeb8f4ab, v38
	v_sub_nc_u32_e32 v58, v20, v40
	v_sub_f32_e32 v37, v37, v31
	v_add_f32_e32 v1, v23, v1
	v_add_f32_e32 v39, v24, v39
	v_fmamk_f32 v59, v41, 0x3f6eb680, v27
	v_fma_f32 v61, 0x3f6eb680, v41, -v27
	v_lshrrev_b32_e32 v27, 1, v58
	v_add_f32_e32 v1, v16, v1
	v_add_f32_e32 v39, v17, v39
	v_mul_f32_e32 v56, 0xbf4c4adb, v38
	v_add_f32_e32 v46, v28, v30
	v_add_nc_u32_e32 v27, v27, v40
	v_add_f32_e32 v1, v12, v1
	v_add_f32_e32 v39, v13, v39
	v_mul_f32_e32 v48, 0xbeb8f4ab, v37
	v_mul_f32_e32 v51, 0xbf65296c, v38
	v_lshrrev_b32_e32 v27, 2, v27
	v_add_f32_e32 v1, v8, v1
	v_add_f32_e32 v39, v9, v39
	v_sub_f32_e32 v28, v28, v30
	v_mul_f32_e32 v63, 0xbf4c4adb, v37
	v_mul_lo_u32 v27, v27, 7
	v_add_f32_e32 v1, v4, v1
	v_add_f32_e32 v39, v5, v39
	v_mul_f32_e32 v65, 0xbf06c442, v37
	v_add_f32_e32 v43, v35, v33
	v_add_f32_e32 v44, v36, v34
	;; [unrolled: 1-line block ×4, first 2 shown]
	v_sub_nc_u32_e32 v27, v20, v27
	v_sub_f32_e32 v35, v35, v33
	v_sub_f32_e32 v36, v36, v34
	v_add_f32_e32 v1, v10, v1
	v_add_f32_e32 v39, v11, v39
	v_mul_f32_e32 v49, 0xbf2c7751, v38
	v_mul_f32_e32 v50, 0xbf2c7751, v37
	;; [unrolled: 1-line block ×3, first 2 shown]
	v_add_f32_e32 v1, v14, v1
	v_add_f32_e32 v39, v15, v39
	v_mul_f32_e32 v53, 0xbf7ee86f, v38
	v_mul_f32_e32 v54, 0xbf7ee86f, v37
	v_mul_f32_e32 v55, 0xbf763a35, v38
	v_add_f32_e32 v1, v18, v1
	v_add_f32_e32 v39, v19, v39
	v_mul_f32_e32 v57, 0xbf06c442, v38
	v_mul_f32_e32 v38, 0xbe3c28d5, v38
	v_fma_f32 v60, 0x3f6eb680, v42, -v48
	v_add_f32_e32 v1, v25, v1
	v_add_f32_e32 v39, v26, v39
	v_fmamk_f32 v62, v41, 0x3ee437d1, v51
	v_fma_f32 v66, 0xbf1a4643, v42, -v63
	v_fma_f32 v67, 0xbf59a7d5, v42, -v65
	v_add_f32_e32 v1, v29, v1
	v_add_f32_e32 v29, v30, v39
	;; [unrolled: 1-line block ×3, first 2 shown]
	v_sub_f32_e32 v24, v24, v26
	v_fma_f32 v26, 0xbf1a4643, v41, -v56
	v_add_f32_e32 v1, v33, v1
	v_add_f32_e32 v29, v34, v29
	v_fmac_f32_e32 v48, 0x3f6eb680, v42
	v_fmamk_f32 v58, v41, 0x3f3d2fb0, v49
	v_fma_f32 v40, 0x3f3d2fb0, v42, -v50
	v_fma_f32 v49, 0x3f3d2fb0, v41, -v49
	v_add_f32_e32 v20, v32, v29
	v_add_f32_e32 v29, v23, v25
	v_sub_f32_e32 v23, v23, v25
	v_fmamk_f32 v25, v41, 0xbf1a4643, v56
	v_mul_f32_e32 v56, 0xbf763a35, v37
	v_mul_f32_e32 v37, 0xbe3c28d5, v37
	v_fmac_f32_e32 v50, 0x3f3d2fb0, v42
	v_fma_f32 v39, 0x3ee437d1, v41, -v51
	v_fmamk_f32 v51, v41, 0x3dbcf732, v53
	v_fma_f32 v64, 0xbe8c1d8e, v42, -v56
	v_fma_f32 v53, 0x3dbcf732, v41, -v53
	v_fmamk_f32 v33, v41, 0xbe8c1d8e, v55
	v_fma_f32 v34, 0xbe8c1d8e, v41, -v55
	v_add_f32_e32 v1, v31, v1
	v_fmamk_f32 v31, v41, 0xbf59a7d5, v57
	v_fma_f32 v32, 0xbf59a7d5, v41, -v57
	v_fmamk_f32 v55, v41, 0xbf7ba420, v38
	v_fma_f32 v38, 0xbf7ba420, v41, -v38
	v_fma_f32 v41, 0x3ee437d1, v42, -v52
	v_fmac_f32_e32 v52, 0x3ee437d1, v42
	v_fma_f32 v57, 0x3dbcf732, v42, -v54
	v_fmac_f32_e32 v54, 0x3dbcf732, v42
	v_fmac_f32_e32 v56, 0xbe8c1d8e, v42
	;; [unrolled: 1-line block ×4, first 2 shown]
	v_fma_f32 v68, 0xbf7ba420, v42, -v37
	v_fmac_f32_e32 v37, 0xbf7ba420, v42
	v_add_f32_e32 v42, v59, v21
	v_add_f32_e32 v59, v60, v22
	;; [unrolled: 1-line block ×7, first 2 shown]
	v_mul_f32_e32 v67, 0xbf2c7751, v36
	v_mul_f32_e32 v69, 0xbf2c7751, v35
	v_add_f32_e32 v48, v48, v22
	v_add_f32_e32 v58, v58, v21
	;; [unrolled: 1-line block ×23, first 2 shown]
	v_fmamk_f32 v70, v43, 0x3f3d2fb0, v67
	v_add_f32_e32 v21, v38, v21
	v_add_f32_e32 v22, v37, v22
	v_fma_f32 v37, 0x3f3d2fb0, v44, -v69
	v_mul_f32_e32 v38, 0xbf7ee86f, v36
	v_fma_f32 v67, 0x3f3d2fb0, v43, -v67
	v_add_f32_e32 v42, v70, v42
	v_fmac_f32_e32 v69, 0x3f3d2fb0, v44
	v_add_f32_e32 v37, v37, v59
	v_fmamk_f32 v59, v43, 0x3dbcf732, v38
	v_mul_f32_e32 v70, 0xbf7ee86f, v35
	v_add_f32_e32 v60, v67, v60
	v_mul_f32_e32 v67, 0xbf4c4adb, v36
	v_add_f32_e32 v48, v69, v48
	v_add_f32_e32 v58, v59, v58
	v_fma_f32 v59, 0x3dbcf732, v44, -v70
	v_fma_f32 v38, 0x3dbcf732, v43, -v38
	v_fmac_f32_e32 v70, 0x3dbcf732, v44
	v_fmamk_f32 v69, v43, 0xbf1a4643, v67
	v_mul_f32_e32 v71, 0xbf4c4adb, v35
	v_add_f32_e32 v40, v59, v40
	v_add_f32_e32 v38, v38, v49
	;; [unrolled: 1-line block ×4, first 2 shown]
	v_fma_f32 v59, 0xbf1a4643, v44, -v71
	v_mul_f32_e32 v61, 0xbe3c28d5, v36
	v_fma_f32 v67, 0xbf1a4643, v43, -v67
	v_mul_f32_e32 v69, 0xbe3c28d5, v35
	v_mul_f32_e32 v70, 0x3f06c442, v36
	v_add_f32_e32 v41, v59, v41
	v_fmamk_f32 v59, v43, 0xbf7ba420, v61
	v_add_f32_e32 v39, v67, v39
	v_fma_f32 v67, 0xbf7ba420, v44, -v69
	v_fmac_f32_e32 v71, 0xbf1a4643, v44
	v_fmac_f32_e32 v69, 0xbf7ba420, v44
	v_add_f32_e32 v51, v59, v51
	v_fma_f32 v59, 0xbf7ba420, v43, -v61
	v_add_f32_e32 v57, v67, v57
	v_fmamk_f32 v61, v43, 0xbf59a7d5, v70
	v_mul_f32_e32 v67, 0x3f06c442, v35
	v_add_f32_e32 v52, v71, v52
	v_add_f32_e32 v53, v59, v53
	;; [unrolled: 1-line block ×3, first 2 shown]
	v_mul_f32_e32 v59, 0x3f763a35, v36
	v_add_f32_e32 v33, v61, v33
	v_fma_f32 v61, 0xbf59a7d5, v44, -v67
	v_fma_f32 v69, 0xbf59a7d5, v43, -v70
	v_fmac_f32_e32 v67, 0xbf59a7d5, v44
	v_mul_f32_e32 v71, 0x3f763a35, v35
	v_fmamk_f32 v70, v43, 0xbe8c1d8e, v59
	v_add_f32_e32 v61, v61, v62
	v_add_f32_e32 v34, v69, v34
	;; [unrolled: 1-line block ×3, first 2 shown]
	v_fma_f32 v62, 0xbe8c1d8e, v44, -v71
	v_fma_f32 v59, 0xbe8c1d8e, v43, -v59
	v_mul_f32_e32 v67, 0x3f65296c, v36
	v_mul_f32_e32 v69, 0x3f65296c, v35
	;; [unrolled: 1-line block ×3, first 2 shown]
	v_add_f32_e32 v62, v62, v64
	v_add_f32_e32 v26, v59, v26
	v_fmamk_f32 v59, v43, 0x3ee437d1, v67
	v_fma_f32 v64, 0x3ee437d1, v44, -v69
	v_mul_f32_e32 v35, 0x3eb8f4ab, v35
	v_fmac_f32_e32 v69, 0x3ee437d1, v44
	v_fmac_f32_e32 v71, 0xbe8c1d8e, v44
	v_add_f32_e32 v31, v59, v31
	v_add_f32_e32 v59, v64, v66
	v_fmamk_f32 v64, v43, 0x3f6eb680, v36
	v_mul_f32_e32 v66, 0xbf65296c, v28
	v_fma_f32 v67, 0x3ee437d1, v43, -v67
	v_fma_f32 v36, 0x3f6eb680, v43, -v36
	v_fma_f32 v43, 0x3f6eb680, v44, -v35
	v_fmac_f32_e32 v35, 0x3f6eb680, v44
	v_add_f32_e32 v44, v69, v65
	v_add_f32_e32 v55, v64, v55
	v_fmamk_f32 v64, v45, 0x3ee437d1, v66
	v_mul_f32_e32 v65, 0xbf65296c, v47
	v_add_f32_e32 v32, v67, v32
	v_add_f32_e32 v21, v36, v21
	;; [unrolled: 1-line block ×3, first 2 shown]
	v_mul_f32_e32 v35, 0xbf4c4adb, v28
	v_add_f32_e32 v36, v64, v42
	v_fma_f32 v42, 0x3ee437d1, v46, -v65
	v_fma_f32 v64, 0x3ee437d1, v45, -v66
	v_fmac_f32_e32 v65, 0x3ee437d1, v46
	v_mul_f32_e32 v67, 0xbf4c4adb, v47
	v_fmamk_f32 v66, v45, 0xbf1a4643, v35
	v_add_f32_e32 v37, v42, v37
	v_add_f32_e32 v42, v64, v60
	;; [unrolled: 1-line block ×3, first 2 shown]
	v_fma_f32 v60, 0xbf1a4643, v46, -v67
	v_mul_f32_e32 v64, 0x3e3c28d5, v28
	v_fma_f32 v35, 0xbf1a4643, v45, -v35
	v_fmac_f32_e32 v67, 0xbf1a4643, v46
	v_mul_f32_e32 v65, 0x3e3c28d5, v47
	v_add_f32_e32 v58, v66, v58
	v_add_f32_e32 v40, v60, v40
	v_fmamk_f32 v60, v45, 0xbf7ba420, v64
	v_add_f32_e32 v35, v35, v38
	v_add_f32_e32 v38, v67, v49
	v_fma_f32 v49, 0xbf7ba420, v46, -v65
	v_mul_f32_e32 v66, 0x3f763a35, v28
	v_add_f32_e32 v50, v60, v50
	v_fma_f32 v60, 0xbf7ba420, v45, -v64
	v_mul_f32_e32 v64, 0x3f763a35, v47
	v_add_f32_e32 v41, v49, v41
	v_fmamk_f32 v49, v45, 0xbe8c1d8e, v66
	v_fmac_f32_e32 v65, 0xbf7ba420, v46
	v_mul_f32_e32 v67, 0x3f2c7751, v47
	v_add_f32_e32 v39, v60, v39
	v_mul_f32_e32 v60, 0x3f2c7751, v28
	v_add_f32_e32 v49, v49, v51
	v_fma_f32 v51, 0xbe8c1d8e, v46, -v64
	v_fmac_f32_e32 v64, 0xbe8c1d8e, v46
	v_add_f32_e32 v52, v65, v52
	v_fma_f32 v65, 0xbe8c1d8e, v45, -v66
	v_add_f32_e32 v25, v70, v25
	v_add_f32_e32 v51, v51, v57
	;; [unrolled: 1-line block ×3, first 2 shown]
	v_fma_f32 v57, 0x3f3d2fb0, v46, -v67
	v_mul_f32_e32 v64, 0xbeb8f4ab, v28
	v_fmamk_f32 v66, v45, 0x3f3d2fb0, v60
	v_add_f32_e32 v53, v65, v53
	v_fma_f32 v60, 0x3f3d2fb0, v45, -v60
	v_mul_f32_e32 v65, 0xbeb8f4ab, v47
	v_add_f32_e32 v57, v57, v61
	v_fmamk_f32 v61, v45, 0x3f6eb680, v64
	v_add_f32_e32 v63, v71, v63
	v_add_f32_e32 v33, v66, v33
	;; [unrolled: 1-line block ×3, first 2 shown]
	v_fma_f32 v60, 0x3f6eb680, v46, -v65
	v_mul_f32_e32 v66, 0xbf7ee86f, v28
	v_add_f32_e32 v25, v61, v25
	v_fma_f32 v61, 0x3f6eb680, v45, -v64
	v_fmac_f32_e32 v65, 0x3f6eb680, v46
	v_add_f32_e32 v60, v60, v62
	v_fmamk_f32 v62, v45, 0x3dbcf732, v66
	v_mul_f32_e32 v64, 0xbf7ee86f, v47
	v_add_f32_e32 v26, v61, v26
	v_add_f32_e32 v61, v65, v63
	v_fma_f32 v63, 0x3dbcf732, v45, -v66
	v_mul_f32_e32 v28, 0xbf06c442, v28
	v_add_f32_e32 v31, v62, v31
	v_fma_f32 v62, 0x3dbcf732, v46, -v64
	v_mul_f32_e32 v47, 0xbf06c442, v47
	v_add_f32_e32 v32, v63, v32
	v_mul_f32_e32 v63, 0xbf7ee86f, v24
	v_fmac_f32_e32 v67, 0x3f3d2fb0, v46
	v_fmac_f32_e32 v64, 0x3dbcf732, v46
	v_fmamk_f32 v65, v45, 0xbf59a7d5, v28
	v_add_f32_e32 v59, v62, v59
	v_fma_f32 v62, 0xbf59a7d5, v46, -v47
	v_fma_f32 v28, 0xbf59a7d5, v45, -v28
	v_fmac_f32_e32 v47, 0xbf59a7d5, v46
	v_mul_f32_e32 v45, 0xbf7ee86f, v23
	v_fmamk_f32 v46, v29, 0x3dbcf732, v63
	v_add_f32_e32 v43, v43, v68
	v_add_f32_e32 v21, v28, v21
	;; [unrolled: 1-line block ×3, first 2 shown]
	v_fma_f32 v28, 0x3dbcf732, v30, -v45
	v_mul_f32_e32 v47, 0xbe3c28d5, v24
	v_add_f32_e32 v36, v46, v36
	v_fma_f32 v46, 0x3dbcf732, v29, -v63
	v_add_f32_e32 v43, v62, v43
	v_fmac_f32_e32 v45, 0x3dbcf732, v30
	v_add_f32_e32 v28, v28, v37
	v_fmamk_f32 v37, v29, 0xbf7ba420, v47
	v_mul_f32_e32 v62, 0xbe3c28d5, v23
	v_add_f32_e32 v42, v46, v42
	v_mul_f32_e32 v46, 0x3f763a35, v24
	v_add_f32_e32 v45, v45, v48
	v_add_f32_e32 v37, v37, v58
	v_fma_f32 v48, 0xbf7ba420, v30, -v62
	v_fma_f32 v47, 0xbf7ba420, v29, -v47
	v_fmamk_f32 v58, v29, 0xbe8c1d8e, v46
	v_mul_f32_e32 v63, 0x3f763a35, v23
	v_fmac_f32_e32 v62, 0xbf7ba420, v30
	v_add_f32_e32 v40, v48, v40
	v_add_f32_e32 v35, v47, v35
	;; [unrolled: 1-line block ×3, first 2 shown]
	v_fma_f32 v48, 0xbe8c1d8e, v30, -v63
	v_mul_f32_e32 v50, 0x3eb8f4ab, v24
	v_fma_f32 v46, 0xbe8c1d8e, v29, -v46
	v_fmac_f32_e32 v63, 0xbe8c1d8e, v30
	v_mul_f32_e32 v58, 0x3eb8f4ab, v23
	v_add_f32_e32 v38, v62, v38
	v_add_f32_e32 v41, v48, v41
	v_fmamk_f32 v48, v29, 0x3f6eb680, v50
	v_add_f32_e32 v39, v46, v39
	v_add_f32_e32 v46, v63, v52
	v_fma_f32 v52, 0x3f6eb680, v30, -v58
	v_mul_f32_e32 v62, 0xbf65296c, v24
	v_add_f32_e32 v48, v48, v49
	v_fma_f32 v49, 0x3f6eb680, v29, -v50
	v_add_f32_e32 v56, v67, v56
	v_add_f32_e32 v50, v52, v51
	v_fmamk_f32 v51, v29, 0x3ee437d1, v62
	v_mul_f32_e32 v52, 0xbf65296c, v23
	v_mul_f32_e32 v63, 0xbf06c442, v23
	v_fmac_f32_e32 v58, 0x3f6eb680, v30
	v_add_f32_e32 v49, v49, v53
	v_add_f32_e32 v33, v51, v33
	v_fma_f32 v51, 0x3ee437d1, v30, -v52
	v_fmac_f32_e32 v52, 0x3ee437d1, v30
	v_add_f32_e32 v53, v58, v54
	v_mul_f32_e32 v54, 0xbf06c442, v24
	v_fma_f32 v58, 0x3ee437d1, v29, -v62
	v_add_f32_e32 v51, v51, v57
	v_add_f32_e32 v52, v52, v56
	v_fma_f32 v56, 0xbf59a7d5, v30, -v63
	v_mul_f32_e32 v57, 0x3f4c4adb, v24
	v_mul_f32_e32 v24, 0x3f2c7751, v24
	v_add_f32_e32 v55, v65, v55
	v_fmamk_f32 v62, v29, 0xbf59a7d5, v54
	v_add_f32_e32 v56, v56, v60
	v_fmamk_f32 v60, v29, 0xbf1a4643, v57
	v_fma_f32 v57, 0xbf1a4643, v29, -v57
	v_add_f32_e32 v34, v58, v34
	v_fma_f32 v54, 0xbf59a7d5, v29, -v54
	v_fmac_f32_e32 v63, 0xbf59a7d5, v30
	v_mul_f32_e32 v58, 0x3f4c4adb, v23
	v_add_f32_e32 v31, v60, v31
	v_fmamk_f32 v60, v29, 0x3f3d2fb0, v24
	v_add_f32_e32 v32, v57, v32
	v_sub_f32_e32 v57, v17, v19
	v_add_f32_e32 v44, v64, v44
	v_add_f32_e32 v26, v54, v26
	;; [unrolled: 1-line block ×3, first 2 shown]
	v_fma_f32 v61, 0xbf1a4643, v30, -v58
	v_fmac_f32_e32 v58, 0xbf1a4643, v30
	v_mul_f32_e32 v23, 0x3f2c7751, v23
	v_add_f32_e32 v55, v60, v55
	v_fma_f32 v24, 0x3f3d2fb0, v29, -v24
	v_add_f32_e32 v29, v16, v18
	v_mul_f32_e32 v60, 0xbf763a35, v57
	v_sub_f32_e32 v18, v16, v18
	v_add_f32_e32 v44, v58, v44
	v_fma_f32 v58, 0x3f3d2fb0, v30, -v23
	v_fmac_f32_e32 v23, 0x3f3d2fb0, v30
	v_mul_u32_u24_e32 v16, 0x242, v27
	v_add_f32_e32 v17, v17, v19
	v_fmamk_f32 v19, v29, 0xbe8c1d8e, v60
	v_mul_f32_e32 v27, 0xbf763a35, v18
	v_add_f32_e32 v30, v58, v43
	v_add_f32_e32 v21, v24, v21
	;; [unrolled: 1-line block ×4, first 2 shown]
	v_fma_f32 v23, 0xbe8c1d8e, v17, -v27
	v_mul_f32_e32 v24, 0x3f06c442, v57
	v_fma_f32 v36, 0xbe8c1d8e, v29, -v60
	v_fmac_f32_e32 v27, 0xbe8c1d8e, v17
	v_mul_f32_e32 v43, 0x3f06c442, v18
	v_add_f32_e32 v23, v23, v28
	v_fmamk_f32 v28, v29, 0xbf59a7d5, v24
	v_add_f32_e32 v36, v36, v42
	v_add_f32_e32 v27, v27, v45
	v_fma_f32 v42, 0xbf59a7d5, v17, -v43
	v_mul_f32_e32 v45, 0x3f2c7751, v57
	v_fma_f32 v24, 0xbf59a7d5, v29, -v24
	v_fmac_f32_e32 v43, 0xbf59a7d5, v17
	v_add_f32_e32 v28, v28, v37
	v_add_f32_e32 v37, v42, v40
	v_fmamk_f32 v40, v29, 0x3f3d2fb0, v45
	v_mul_f32_e32 v42, 0x3f2c7751, v18
	v_add_f32_e32 v24, v24, v35
	v_add_f32_e32 v35, v43, v38
	v_mul_f32_e32 v38, 0xbf65296c, v57
	v_add_f32_e32 v40, v40, v47
	v_fma_f32 v43, 0x3f3d2fb0, v17, -v42
	v_fma_f32 v45, 0x3f3d2fb0, v29, -v45
	v_fmac_f32_e32 v42, 0x3f3d2fb0, v17
	v_fmamk_f32 v47, v29, 0x3ee437d1, v38
	v_mul_f32_e32 v58, 0xbf65296c, v18
	v_add_f32_e32 v41, v43, v41
	v_add_f32_e32 v39, v45, v39
	;; [unrolled: 1-line block ×4, first 2 shown]
	v_fma_f32 v45, 0x3ee437d1, v17, -v58
	v_mul_f32_e32 v46, 0xbe3c28d5, v57
	v_mul_f32_e32 v47, 0xbe3c28d5, v18
	v_fma_f32 v38, 0x3ee437d1, v29, -v38
	v_fmac_f32_e32 v58, 0x3ee437d1, v17
	v_add_f32_e32 v45, v45, v50
	v_fmamk_f32 v48, v29, 0xbf7ba420, v46
	v_fma_f32 v50, 0xbf7ba420, v17, -v47
	v_fma_f32 v46, 0xbf7ba420, v29, -v46
	v_fmac_f32_e32 v47, 0xbf7ba420, v17
	v_add_f32_e32 v38, v38, v49
	v_add_f32_e32 v49, v58, v53
	v_mul_f32_e32 v53, 0x3f7ee86f, v57
	v_add_f32_e32 v34, v46, v34
	v_add_f32_e32 v46, v47, v52
	v_mul_f32_e32 v47, 0xbeb8f4ab, v57
	v_add_f32_e32 v25, v62, v25
	v_add_f32_e32 v33, v48, v33
	;; [unrolled: 1-line block ×3, first 2 shown]
	v_fmamk_f32 v50, v29, 0x3dbcf732, v53
	v_mul_f32_e32 v51, 0x3f7ee86f, v18
	v_fma_f32 v52, 0x3dbcf732, v29, -v53
	v_fmamk_f32 v53, v29, 0x3f6eb680, v47
	v_fma_f32 v47, 0x3f6eb680, v29, -v47
	v_add_f32_e32 v25, v50, v25
	v_fma_f32 v50, 0x3dbcf732, v17, -v51
	v_fmac_f32_e32 v51, 0x3dbcf732, v17
	v_add_f32_e32 v31, v53, v31
	v_mul_f32_e32 v53, 0xbf4c4adb, v57
	v_mul_f32_e32 v58, 0xbeb8f4ab, v18
	;; [unrolled: 1-line block ×3, first 2 shown]
	v_add_f32_e32 v51, v51, v54
	v_add_f32_e32 v32, v47, v32
	v_fmamk_f32 v54, v29, 0xbf1a4643, v53
	v_sub_f32_e32 v47, v13, v15
	v_add_f32_e32 v50, v50, v56
	v_fma_f32 v56, 0xbf1a4643, v17, -v18
	v_fma_f32 v29, 0xbf1a4643, v29, -v53
	v_add_f32_e32 v54, v54, v55
	v_add_f32_e32 v55, v12, v14
	v_sub_f32_e32 v12, v12, v14
	v_mul_f32_e32 v14, 0xbf4c4adb, v47
	v_fmac_f32_e32 v18, 0xbf1a4643, v17
	v_add_f32_e32 v13, v13, v15
	v_add_f32_e32 v26, v52, v26
	v_mul_f32_e32 v15, 0xbf4c4adb, v12
	v_fma_f32 v52, 0x3f6eb680, v17, -v58
	v_fmac_f32_e32 v58, 0x3f6eb680, v17
	v_fmamk_f32 v17, v55, 0xbf1a4643, v14
	v_add_f32_e32 v21, v29, v21
	v_add_f32_e32 v18, v18, v22
	v_mul_f32_e32 v22, 0x3f763a35, v47
	v_fma_f32 v29, 0xbf1a4643, v13, -v15
	v_fmac_f32_e32 v15, 0xbf1a4643, v13
	v_add_f32_e32 v17, v17, v19
	v_fma_f32 v14, 0xbf1a4643, v55, -v14
	v_fmamk_f32 v19, v55, 0xbe8c1d8e, v22
	v_add_f32_e32 v23, v29, v23
	v_mul_f32_e32 v29, 0x3f763a35, v12
	v_add_f32_e32 v15, v15, v27
	v_mul_f32_e32 v27, 0xbeb8f4ab, v47
	v_add_f32_e32 v14, v14, v36
	v_add_f32_e32 v19, v19, v28
	v_fma_f32 v28, 0xbe8c1d8e, v13, -v29
	v_fma_f32 v22, 0xbe8c1d8e, v55, -v22
	v_fmac_f32_e32 v29, 0xbe8c1d8e, v13
	v_mul_f32_e32 v36, 0xbeb8f4ab, v12
	v_fmamk_f32 v53, v55, 0x3f6eb680, v27
	v_add_f32_e32 v28, v28, v37
	v_add_f32_e32 v22, v22, v24
	;; [unrolled: 1-line block ×3, first 2 shown]
	v_fma_f32 v29, 0x3f6eb680, v13, -v36
	v_add_f32_e32 v35, v53, v40
	v_mul_f32_e32 v37, 0xbf06c442, v47
	v_fma_f32 v27, 0x3f6eb680, v55, -v27
	v_fmac_f32_e32 v36, 0x3f6eb680, v13
	v_mul_f32_e32 v40, 0xbf06c442, v12
	v_add_f32_e32 v29, v29, v41
	v_fmamk_f32 v41, v55, 0xbf59a7d5, v37
	v_add_f32_e32 v27, v27, v39
	v_add_f32_e32 v36, v36, v42
	v_mul_f32_e32 v39, 0x3f7ee86f, v47
	v_fma_f32 v42, 0xbf59a7d5, v13, -v40
	v_add_f32_e32 v41, v41, v43
	v_fma_f32 v37, 0xbf59a7d5, v55, -v37
	v_fmac_f32_e32 v40, 0xbf59a7d5, v13
	v_fmamk_f32 v43, v55, 0x3dbcf732, v39
	v_add_f32_e32 v42, v42, v45
	v_mul_f32_e32 v45, 0x3f7ee86f, v12
	v_add_f32_e32 v37, v37, v38
	v_add_f32_e32 v38, v40, v49
	;; [unrolled: 1-line block ×3, first 2 shown]
	v_mul_f32_e32 v40, 0xbf2c7751, v47
	v_fma_f32 v43, 0x3dbcf732, v13, -v45
	v_fma_f32 v39, 0x3dbcf732, v55, -v39
	v_fmac_f32_e32 v45, 0x3dbcf732, v13
	v_mul_f32_e32 v49, 0xbf2c7751, v12
	v_fmamk_f32 v53, v55, 0x3f3d2fb0, v40
	v_add_f32_e32 v43, v43, v48
	v_add_f32_e32 v34, v39, v34
	;; [unrolled: 1-line block ×3, first 2 shown]
	v_fma_f32 v45, 0x3f3d2fb0, v13, -v49
	v_mul_f32_e32 v46, 0xbe3c28d5, v47
	v_fma_f32 v40, 0x3f3d2fb0, v55, -v40
	v_fmac_f32_e32 v49, 0x3f3d2fb0, v13
	v_mul_f32_e32 v48, 0xbe3c28d5, v12
	v_add_f32_e32 v44, v58, v44
	v_add_f32_e32 v45, v45, v50
	v_fmamk_f32 v50, v55, 0xbf7ba420, v46
	v_add_f32_e32 v26, v40, v26
	v_add_f32_e32 v40, v49, v51
	v_mul_f32_e32 v47, 0x3f65296c, v47
	v_fma_f32 v49, 0xbf7ba420, v13, -v48
	v_fmac_f32_e32 v48, 0xbf7ba420, v13
	v_add_f32_e32 v31, v50, v31
	v_fma_f32 v46, 0xbf7ba420, v55, -v46
	v_fmamk_f32 v50, v55, 0x3ee437d1, v47
	v_mul_f32_e32 v12, 0x3f65296c, v12
	v_add_f32_e32 v44, v48, v44
	v_sub_f32_e32 v48, v9, v11
	v_sub_f32_e32 v51, v8, v10
	v_add_f32_e32 v30, v56, v30
	v_add_f32_e32 v32, v46, v32
	;; [unrolled: 1-line block ×3, first 2 shown]
	v_fma_f32 v50, 0x3ee437d1, v13, -v12
	v_fma_f32 v47, 0x3ee437d1, v55, -v47
	v_add_f32_e32 v8, v8, v10
	v_mul_f32_e32 v10, 0xbf06c442, v48
	v_fmac_f32_e32 v12, 0x3ee437d1, v13
	v_add_f32_e32 v9, v9, v11
	v_mul_f32_e32 v11, 0xbf06c442, v51
	v_add_f32_e32 v13, v50, v30
	v_fmamk_f32 v30, v8, 0xbf59a7d5, v10
	v_add_f32_e32 v21, v47, v21
	v_add_f32_e32 v12, v12, v18
	v_fma_f32 v18, 0xbf59a7d5, v9, -v11
	v_mul_f32_e32 v47, 0x3f65296c, v48
	v_fma_f32 v10, 0xbf59a7d5, v8, -v10
	v_add_f32_e32 v17, v30, v17
	v_fmac_f32_e32 v11, 0xbf59a7d5, v9
	v_add_f32_e32 v18, v18, v23
	v_fmamk_f32 v23, v8, 0x3ee437d1, v47
	v_mul_f32_e32 v30, 0x3f65296c, v51
	v_add_f32_e32 v10, v10, v14
	v_mul_f32_e32 v14, 0xbf7ee86f, v48
	v_add_f32_e32 v11, v11, v15
	v_add_f32_e32 v15, v23, v19
	v_fma_f32 v19, 0x3ee437d1, v9, -v30
	v_fma_f32 v23, 0x3ee437d1, v8, -v47
	v_fmac_f32_e32 v30, 0x3ee437d1, v9
	v_fmamk_f32 v47, v8, 0x3dbcf732, v14
	v_mul_f32_e32 v50, 0xbf7ee86f, v51
	v_add_f32_e32 v19, v19, v28
	v_add_f32_e32 v22, v23, v22
	;; [unrolled: 1-line block ×4, first 2 shown]
	v_fma_f32 v28, 0x3dbcf732, v9, -v50
	v_mul_f32_e32 v30, 0x3f4c4adb, v48
	v_fma_f32 v14, 0x3dbcf732, v8, -v14
	v_fmac_f32_e32 v50, 0x3dbcf732, v9
	v_mul_f32_e32 v35, 0x3f4c4adb, v51
	v_add_f32_e32 v28, v28, v29
	v_fmamk_f32 v29, v8, 0xbf1a4643, v30
	v_add_f32_e32 v14, v14, v27
	v_add_f32_e32 v27, v50, v36
	v_fma_f32 v36, 0xbf1a4643, v9, -v35
	v_mul_f32_e32 v47, 0xbeb8f4ab, v48
	v_add_f32_e32 v29, v29, v41
	v_fma_f32 v30, 0xbf1a4643, v8, -v30
	v_fmac_f32_e32 v35, 0xbf1a4643, v9
	v_add_f32_e32 v36, v36, v42
	v_fmamk_f32 v41, v8, 0x3f6eb680, v47
	v_mul_f32_e32 v42, 0xbeb8f4ab, v51
	v_add_f32_e32 v30, v30, v37
	v_add_f32_e32 v35, v35, v38
	v_mul_f32_e32 v37, 0xbe3c28d5, v48
	v_add_f32_e32 v33, v41, v33
	v_fma_f32 v38, 0x3f6eb680, v9, -v42
	v_fma_f32 v41, 0x3f6eb680, v8, -v47
	v_fmac_f32_e32 v42, 0x3f6eb680, v9
	v_mul_f32_e32 v50, 0xbe3c28d5, v51
	v_add_f32_e32 v25, v53, v25
	v_fmamk_f32 v47, v8, 0xbf7ba420, v37
	v_add_f32_e32 v38, v38, v43
	v_add_f32_e32 v34, v41, v34
	v_add_f32_e32 v39, v42, v39
	v_fma_f32 v41, 0xbf7ba420, v9, -v50
	v_mul_f32_e32 v42, 0x3f2c7751, v48
	v_fma_f32 v37, 0xbf7ba420, v8, -v37
	v_fmac_f32_e32 v50, 0xbf7ba420, v9
	v_mul_f32_e32 v43, 0x3f2c7751, v51
	v_add_f32_e32 v25, v47, v25
	v_add_f32_e32 v41, v41, v45
	v_fmamk_f32 v45, v8, 0x3f3d2fb0, v42
	v_add_f32_e32 v26, v37, v26
	v_add_f32_e32 v37, v50, v40
	v_fma_f32 v40, 0x3f3d2fb0, v9, -v43
	v_mul_f32_e32 v47, 0xbf763a35, v48
	v_fma_f32 v42, 0x3f3d2fb0, v8, -v42
	v_fmac_f32_e32 v43, 0x3f3d2fb0, v9
	v_add_f32_e32 v31, v45, v31
	v_mul_f32_e32 v48, 0xbf763a35, v51
	v_fmamk_f32 v45, v8, 0xbe8c1d8e, v47
	v_add_f32_e32 v32, v42, v32
	v_add_f32_e32 v42, v43, v44
	v_sub_f32_e32 v43, v5, v7
	v_fma_f32 v8, 0xbe8c1d8e, v8, -v47
	v_add_f32_e32 v44, v45, v46
	v_add_f32_e32 v46, v4, v6
	v_sub_f32_e32 v4, v4, v6
	v_mul_f32_e32 v6, 0xbe3c28d5, v43
	v_fma_f32 v45, 0xbe8c1d8e, v9, -v48
	v_fmac_f32_e32 v48, 0xbe8c1d8e, v9
	v_add_f32_e32 v5, v5, v7
	v_mul_f32_e32 v7, 0xbe3c28d5, v4
	v_fmamk_f32 v9, v46, 0xbf7ba420, v6
	v_add_f32_e32 v8, v8, v21
	v_fma_f32 v6, 0xbf7ba420, v46, -v6
	v_add_f32_e32 v13, v45, v13
	v_fma_f32 v21, 0xbf7ba420, v5, -v7
	v_add_f32_e32 v9, v9, v17
	v_mul_f32_e32 v17, 0x3eb8f4ab, v43
	v_fmac_f32_e32 v7, 0xbf7ba420, v5
	v_add_f32_e32 v10, v6, v10
	v_add_f32_e32 v18, v21, v18
	v_mul_f32_e32 v21, 0x3eb8f4ab, v4
	v_fmamk_f32 v45, v46, 0x3f6eb680, v17
	v_mul_f32_e32 v6, 0xbf06c442, v43
	v_add_f32_e32 v11, v7, v11
	v_fma_f32 v17, 0x3f6eb680, v46, -v17
	v_fma_f32 v7, 0x3f6eb680, v5, -v21
	v_add_f32_e32 v15, v45, v15
	v_fmamk_f32 v45, v46, 0xbf59a7d5, v6
	v_fmac_f32_e32 v21, 0x3f6eb680, v5
	v_fma_f32 v6, 0xbf59a7d5, v46, -v6
	v_add_f32_e32 v47, v7, v19
	v_mul_f32_e32 v7, 0xbf06c442, v4
	v_add_f32_e32 v19, v45, v24
	v_mul_f32_e32 v24, 0x3f2c7751, v4
	v_add_f32_e32 v17, v17, v22
	v_add_f32_e32 v21, v21, v23
	v_mul_f32_e32 v22, 0x3f2c7751, v43
	v_fma_f32 v23, 0xbf59a7d5, v5, -v7
	v_add_f32_e32 v14, v6, v14
	v_fma_f32 v6, 0x3f3d2fb0, v5, -v24
	v_fmac_f32_e32 v7, 0xbf59a7d5, v5
	v_fmamk_f32 v45, v46, 0x3f3d2fb0, v22
	v_add_f32_e32 v23, v23, v28
	v_fma_f32 v22, 0x3f3d2fb0, v46, -v22
	v_mul_f32_e32 v28, 0xbf4c4adb, v43
	v_fmac_f32_e32 v24, 0x3f3d2fb0, v5
	v_add_f32_e32 v36, v6, v36
	v_mul_f32_e32 v6, 0xbf4c4adb, v4
	v_add_f32_e32 v27, v7, v27
	v_add_f32_e32 v7, v45, v29
	;; [unrolled: 1-line block ×3, first 2 shown]
	v_fmamk_f32 v29, v46, 0xbf1a4643, v28
	v_add_f32_e32 v24, v24, v35
	v_mul_f32_e32 v30, 0x3f65296c, v43
	v_fma_f32 v35, 0xbf1a4643, v5, -v6
	v_fmac_f32_e32 v6, 0xbf1a4643, v5
	v_add_f32_e32 v59, v61, v59
	v_fma_f32 v28, 0xbf1a4643, v46, -v28
	v_add_f32_e32 v29, v29, v33
	v_fmamk_f32 v33, v46, 0x3ee437d1, v30
	v_add_f32_e32 v35, v35, v38
	v_add_f32_e32 v38, v6, v39
	v_mul_f32_e32 v6, 0xbf763a35, v43
	v_add_f32_e32 v52, v52, v59
	v_add_f32_e32 v28, v28, v34
	v_mul_f32_e32 v34, 0x3f65296c, v4
	v_add_f32_e32 v25, v33, v25
	v_mul_f32_e32 v33, 0xbf763a35, v4
	v_fma_f32 v30, 0x3ee437d1, v46, -v30
	v_fmamk_f32 v45, v46, 0xbe8c1d8e, v6
	v_add_f32_e32 v49, v49, v52
	v_add_f32_e32 v12, v48, v12
	v_fma_f32 v39, 0x3ee437d1, v5, -v34
	v_fma_f32 v48, 0xbe8c1d8e, v5, -v33
	v_add_f32_e32 v26, v30, v26
	v_add_f32_e32 v30, v45, v31
	v_fma_f32 v31, 0xbe8c1d8e, v46, -v6
	v_fmac_f32_e32 v33, 0xbe8c1d8e, v5
	v_lshlrev_b32_e32 v6, 2, v16
	v_mul_f32_e32 v4, 0x3f7ee86f, v4
	v_add_f32_e32 v40, v40, v49
	v_fmac_f32_e32 v34, 0x3ee437d1, v5
	v_mul_f32_e32 v16, 0x3f7ee86f, v43
	v_add_f32_e32 v39, v39, v41
	v_add_f32_e32 v31, v31, v32
	;; [unrolled: 1-line block ×3, first 2 shown]
	v_add_nc_u32_e32 v33, 0, v6
	v_fma_f32 v41, 0x3dbcf732, v5, -v4
	v_fmac_f32_e32 v4, 0x3dbcf732, v5
	v_add_f32_e32 v34, v34, v37
	v_add_f32_e32 v37, v48, v40
	v_fmamk_f32 v40, v46, 0x3dbcf732, v16
	v_fma_f32 v16, 0x3dbcf732, v46, -v16
	v_mad_u32_u24 v42, 0x44, v0, v33
	v_add_f32_e32 v12, v4, v12
	v_subrev_nc_u32_e32 v4, 17, v0
	v_cmp_gt_u32_e64 s0, 17, v0
	v_add_f32_e32 v5, v40, v44
	v_add_f32_e32 v8, v16, v8
	ds_write2_b32 v42, v1, v9 offset1:1
	ds_write2_b32 v42, v15, v19 offset0:2 offset1:3
	ds_write2_b32 v42, v7, v29 offset0:4 offset1:5
	;; [unrolled: 1-line block ×4, first 2 shown]
	v_lshlrev_b32_e32 v1, 2, v0
	v_cndmask_b32_e64 v7, v4, v0, s0
	v_mov_b32_e32 v9, 0
	v_add_f32_e32 v13, v41, v13
	ds_write2_b32 v42, v31, v26 offset0:10 offset1:11
	ds_write2_b32 v42, v28, v22 offset0:12 offset1:13
	;; [unrolled: 1-line block ×3, first 2 shown]
	ds_write_b32 v42, v10 offset:64
	v_add_nc_u32_e32 v33, v33, v1
	v_lshlrev_b32_e32 v8, 4, v7
	v_add3_u32 v1, 0, v1, v6
	s_waitcnt lgkmcnt(0)
	s_barrier
	buffer_gl0_inv
	v_lshlrev_b64 v[8:9], 3, v[8:9]
	v_add_nc_u32_e32 v31, 0x400, v1
	v_add_nc_u32_e32 v41, 0x600, v1
	;; [unrolled: 1-line block ×3, first 2 shown]
	ds_read_b32 v5, v33
	ds_read2_b32 v[16:17], v1 offset0:34 offset1:68
	ds_read2_b32 v[25:26], v1 offset0:102 offset1:136
	;; [unrolled: 1-line block ×8, first 2 shown]
	s_waitcnt lgkmcnt(0)
	s_barrier
	buffer_gl0_inv
	ds_write2_b32 v42, v20, v18 offset1:1
	ds_write2_b32 v42, v47, v23 offset0:2 offset1:3
	ds_write2_b32 v42, v36, v35 offset0:4 offset1:5
	;; [unrolled: 1-line block ×7, first 2 shown]
	v_add_co_u32 v27, s1, s8, v8
	v_add_co_ci_u32_e64 v28, s1, s9, v9, s1
	ds_write_b32 v42, v11 offset:64
	s_waitcnt lgkmcnt(0)
	s_barrier
	buffer_gl0_inv
	s_clause 0x7
	global_load_dwordx4 v[8:11], v[27:28], off
	global_load_dwordx4 v[12:15], v[27:28], off offset:16
	global_load_dwordx4 v[21:24], v[27:28], off offset:32
	;; [unrolled: 1-line block ×7, first 2 shown]
	ds_read2_b32 v[27:28], v1 offset0:34 offset1:68
	ds_read2_b32 v[34:35], v1 offset0:102 offset1:136
	;; [unrolled: 1-line block ×4, first 2 shown]
	v_cmp_lt_u32_e64 s1, 16, v0
	v_lshlrev_b32_e32 v7, 2, v7
	s_waitcnt vmcnt(7) lgkmcnt(3)
	v_mul_f32_e32 v45, v28, v11
	v_mul_f32_e32 v11, v17, v11
	;; [unrolled: 1-line block ×4, first 2 shown]
	s_waitcnt vmcnt(6) lgkmcnt(2)
	v_mul_f32_e32 v40, v34, v13
	v_fmac_f32_e32 v45, v17, v10
	v_fma_f32 v47, v28, v10, -v11
	v_mul_f32_e32 v10, v25, v13
	v_fmac_f32_e32 v50, v16, v8
	v_fma_f32 v51, v27, v8, -v9
	v_fmac_f32_e32 v40, v25, v12
	v_mul_f32_e32 v11, v26, v15
	s_waitcnt vmcnt(5) lgkmcnt(1)
	v_mul_f32_e32 v32, v78, v22
	ds_read2_b32 v[8:9], v31 offset0:50 offset1:84
	v_fma_f32 v42, v34, v12, -v10
	v_mul_f32_e32 v12, v29, v22
	v_mul_f32_e32 v13, v30, v24
	v_mul_f32_e32 v37, v35, v15
	v_fma_f32 v38, v35, v14, -v11
	v_fmac_f32_e32 v32, v29, v21
	ds_read2_b32 v[10:11], v31 offset0:118 offset1:152
	v_fma_f32 v35, v78, v21, -v12
	v_fma_f32 v29, v79, v23, -v13
	ds_read2_b32 v[12:13], v41 offset0:126 offset1:160
	v_fmac_f32_e32 v37, v26, v14
	s_waitcnt vmcnt(4)
	v_mul_f32_e32 v14, v43, v53
	v_mul_f32_e32 v16, v44, v55
	;; [unrolled: 1-line block ×3, first 2 shown]
	s_waitcnt vmcnt(3)
	v_mul_f32_e32 v17, v49, v59
	s_waitcnt lgkmcnt(3)
	v_mul_f32_e32 v24, v80, v53
	v_fma_f32 v26, v80, v52, -v14
	ds_read2_b32 v[14:15], v31 offset0:186 offset1:220
	v_fma_f32 v22, v81, v54, -v16
	v_mul_f32_e32 v16, v48, v57
	v_fmac_f32_e32 v28, v30, v23
	s_waitcnt lgkmcnt(3)
	v_mul_f32_e32 v21, v8, v57
	v_mul_f32_e32 v25, v9, v59
	v_fma_f32 v27, v9, v58, -v17
	v_fma_f32 v23, v8, v56, -v16
	s_waitcnt vmcnt(2)
	v_mul_f32_e32 v8, v72, v61
	s_waitcnt vmcnt(1)
	v_mul_f32_e32 v9, v77, v67
	v_fmac_f32_e32 v21, v48, v56
	v_mul_f32_e32 v20, v81, v55
	s_waitcnt lgkmcnt(1)
	v_mul_f32_e32 v56, v13, v67
	v_fma_f32 v34, v10, v60, -v8
	v_mul_f32_e32 v8, v73, v63
	v_fma_f32 v48, v13, v66, -v9
	v_mul_f32_e32 v13, v76, v65
	v_fmac_f32_e32 v56, v77, v66
	v_fmac_f32_e32 v24, v43, v52
	v_fma_f32 v39, v11, v62, -v8
	s_waitcnt vmcnt(0)
	v_mul_f32_e32 v8, v74, v69
	v_sub_f32_e32 v9, v51, v48
	v_fmac_f32_e32 v20, v44, v54
	v_mul_f32_e32 v30, v10, v61
	v_mul_f32_e32 v36, v11, v63
	s_waitcnt lgkmcnt(0)
	v_fma_f32 v44, v14, v68, -v8
	v_add_f32_e32 v8, v50, v56
	v_mul_f32_e32 v10, 0xbeb8f4ab, v9
	v_mul_f32_e32 v11, v75, v71
	;; [unrolled: 1-line block ×3, first 2 shown]
	v_fma_f32 v52, v12, v64, -v13
	v_cndmask_b32_e64 v41, 0, 0x484, s1
	v_fmac_f32_e32 v25, v49, v58
	v_mul_f32_e32 v43, v14, v69
	v_mul_f32_e32 v46, v15, v71
	v_fmamk_f32 v14, v8, 0x3f6eb680, v10
	v_fma_f32 v49, v15, v70, -v11
	v_fmac_f32_e32 v54, v76, v64
	v_mul_f32_e32 v11, 0xbf2c7751, v9
	v_mul_f32_e32 v13, 0xbf65296c, v9
	;; [unrolled: 1-line block ×6, first 2 shown]
	v_add_nc_u32_e32 v41, 0, v41
	v_sub_f32_e32 v59, v47, v52
	v_mul_f32_e32 v9, 0xbe3c28d5, v9
	v_fmac_f32_e32 v30, v72, v60
	v_add_f32_e32 v12, v5, v14
	v_fma_f32 v10, 0x3f6eb680, v8, -v10
	v_fmamk_f32 v14, v8, 0x3f3d2fb0, v11
	v_fma_f32 v11, 0x3f3d2fb0, v8, -v11
	v_fmamk_f32 v16, v8, 0x3ee437d1, v13
	;; [unrolled: 2-line block ×6, first 2 shown]
	v_add3_u32 v41, v41, v7, v6
	v_add_f32_e32 v6, v45, v54
	v_mul_f32_e32 v7, 0xbf2c7751, v59
	v_fma_f32 v57, 0xbf59a7d5, v8, -v57
	v_fmamk_f32 v61, v8, 0xbf7ba420, v9
	v_fma_f32 v8, 0xbf7ba420, v8, -v9
	v_mul_f32_e32 v9, 0xbf7ee86f, v59
	v_fmac_f32_e32 v36, v73, v62
	v_fmamk_f32 v62, v6, 0x3f3d2fb0, v7
	v_add_f32_e32 v11, v5, v11
	v_add_f32_e32 v10, v5, v10
	v_fmamk_f32 v63, v6, 0x3dbcf732, v9
	v_fma_f32 v9, 0x3dbcf732, v6, -v9
	v_fma_f32 v7, 0x3f3d2fb0, v6, -v7
	v_add_f32_e32 v14, v5, v14
	v_add_f32_e32 v12, v62, v12
	v_mul_f32_e32 v62, 0xbf4c4adb, v59
	v_add_f32_e32 v9, v9, v11
	v_add_f32_e32 v11, v5, v16
	v_mul_f32_e32 v16, 0xbe3c28d5, v59
	v_add_f32_e32 v7, v7, v10
	v_add_f32_e32 v10, v63, v14
	v_fmamk_f32 v14, v6, 0xbf1a4643, v62
	v_add_f32_e32 v18, v5, v18
	v_mul_f32_e32 v63, 0x3f06c442, v59
	v_fmamk_f32 v64, v6, 0xbf7ba420, v16
	v_add_f32_e32 v13, v5, v13
	v_fma_f32 v62, 0xbf1a4643, v6, -v62
	v_add_f32_e32 v15, v5, v15
	v_fma_f32 v16, 0xbf7ba420, v6, -v16
	v_add_f32_e32 v53, v5, v53
	v_fmamk_f32 v65, v6, 0xbf59a7d5, v63
	v_add_f32_e32 v11, v14, v11
	v_add_f32_e32 v14, v64, v18
	v_mul_f32_e32 v18, 0x3f763a35, v59
	v_add_f32_e32 v13, v62, v13
	v_add_f32_e32 v15, v16, v15
	;; [unrolled: 1-line block ×3, first 2 shown]
	v_fma_f32 v53, 0xbf59a7d5, v6, -v63
	v_mul_f32_e32 v62, 0x3f65296c, v59
	v_fmamk_f32 v63, v6, 0xbe8c1d8e, v18
	v_add_f32_e32 v55, v5, v55
	v_fma_f32 v18, 0xbe8c1d8e, v6, -v18
	v_fmac_f32_e32 v46, v75, v70
	v_add_f32_e32 v17, v5, v17
	v_add_f32_e32 v58, v5, v58
	;; [unrolled: 1-line block ×3, first 2 shown]
	v_fmamk_f32 v64, v6, 0x3ee437d1, v62
	v_add_f32_e32 v18, v18, v55
	v_mul_f32_e32 v55, 0x3eb8f4ab, v59
	v_sub_f32_e32 v59, v42, v49
	v_add_f32_e32 v17, v53, v17
	v_add_f32_e32 v53, v63, v58
	;; [unrolled: 1-line block ×4, first 2 shown]
	v_fma_f32 v60, 0x3ee437d1, v6, -v62
	v_fmamk_f32 v62, v6, 0x3f6eb680, v55
	v_add_f32_e32 v61, v5, v61
	v_add_f32_e32 v63, v40, v46
	v_mul_f32_e32 v64, 0xbf65296c, v59
	v_fma_f32 v6, 0x3f6eb680, v6, -v55
	v_add_f32_e32 v8, v5, v8
	v_add_f32_e32 v55, v60, v57
	;; [unrolled: 1-line block ×3, first 2 shown]
	v_fmamk_f32 v60, v63, 0x3ee437d1, v64
	v_mul_f32_e32 v61, 0xbf4c4adb, v59
	v_add_f32_e32 v6, v6, v8
	v_fma_f32 v8, 0x3ee437d1, v63, -v64
	v_mul_f32_e32 v62, 0x3e3c28d5, v59
	v_add_f32_e32 v12, v60, v12
	v_fmamk_f32 v60, v63, 0xbf1a4643, v61
	v_fma_f32 v61, 0xbf1a4643, v63, -v61
	v_add_f32_e32 v7, v8, v7
	v_fmamk_f32 v8, v63, 0xbf7ba420, v62
	v_mul_f32_e32 v64, 0x3f763a35, v59
	v_add_f32_e32 v10, v60, v10
	v_add_f32_e32 v9, v61, v9
	v_fma_f32 v60, 0xbf7ba420, v63, -v62
	v_add_f32_e32 v8, v8, v11
	v_fmamk_f32 v11, v63, 0xbe8c1d8e, v64
	v_mul_f32_e32 v61, 0x3f2c7751, v59
	v_fma_f32 v62, 0xbe8c1d8e, v63, -v64
	v_add_f32_e32 v13, v60, v13
	v_mul_f32_e32 v60, 0xbeb8f4ab, v59
	v_add_f32_e32 v11, v11, v14
	v_fmamk_f32 v14, v63, 0x3f3d2fb0, v61
	v_mul_f32_e32 v64, 0xbf7ee86f, v59
	v_fmac_f32_e32 v43, v74, v68
	v_add_f32_e32 v15, v62, v15
	v_fma_f32 v61, 0x3f3d2fb0, v63, -v61
	v_add_f32_e32 v14, v14, v16
	v_fma_f32 v16, 0x3f6eb680, v63, -v60
	v_fmamk_f32 v62, v63, 0x3f6eb680, v60
	v_fmamk_f32 v60, v63, 0x3dbcf732, v64
	v_mul_f32_e32 v59, 0xbf06c442, v59
	v_add_f32_e32 v17, v61, v17
	v_add_f32_e32 v16, v16, v18
	v_sub_f32_e32 v18, v38, v44
	v_add_f32_e32 v53, v62, v53
	v_fma_f32 v61, 0x3dbcf732, v63, -v64
	v_add_f32_e32 v58, v60, v58
	v_fmamk_f32 v60, v63, 0xbf59a7d5, v59
	v_add_f32_e32 v62, v37, v43
	v_mul_f32_e32 v64, 0xbf7ee86f, v18
	v_fma_f32 v59, 0xbf59a7d5, v63, -v59
	v_add_f32_e32 v55, v61, v55
	v_add_f32_e32 v57, v60, v57
	v_mul_f32_e32 v60, 0xbe3c28d5, v18
	v_fmamk_f32 v61, v62, 0x3dbcf732, v64
	v_fma_f32 v63, 0x3dbcf732, v62, -v64
	v_add_f32_e32 v6, v59, v6
	v_mul_f32_e32 v59, 0x3f763a35, v18
	v_fmamk_f32 v64, v62, 0xbf7ba420, v60
	v_add_f32_e32 v12, v61, v12
	v_add_f32_e32 v7, v63, v7
	v_fma_f32 v60, 0xbf7ba420, v62, -v60
	v_fmamk_f32 v61, v62, 0xbe8c1d8e, v59
	v_mul_f32_e32 v63, 0x3eb8f4ab, v18
	v_fma_f32 v59, 0xbe8c1d8e, v62, -v59
	v_add_f32_e32 v10, v64, v10
	v_add_f32_e32 v9, v60, v9
	;; [unrolled: 1-line block ×3, first 2 shown]
	v_mul_f32_e32 v60, 0xbf65296c, v18
	v_fmamk_f32 v61, v62, 0x3f6eb680, v63
	v_add_f32_e32 v13, v59, v13
	v_fma_f32 v59, 0x3f6eb680, v62, -v63
	v_mul_f32_e32 v63, 0xbf06c442, v18
	v_fmamk_f32 v64, v62, 0x3ee437d1, v60
	v_fma_f32 v60, 0x3ee437d1, v62, -v60
	v_add_f32_e32 v11, v61, v11
	v_add_f32_e32 v15, v59, v15
	v_fmamk_f32 v59, v62, 0xbf59a7d5, v63
	v_fma_f32 v61, 0xbf59a7d5, v62, -v63
	v_add_f32_e32 v17, v60, v17
	v_mul_f32_e32 v60, 0x3f4c4adb, v18
	v_mul_f32_e32 v18, 0x3f2c7751, v18
	v_add_f32_e32 v53, v59, v53
	v_sub_f32_e32 v59, v35, v39
	v_add_f32_e32 v14, v64, v14
	v_add_f32_e32 v16, v61, v16
	v_fmamk_f32 v61, v62, 0xbf1a4643, v60
	v_fma_f32 v60, 0xbf1a4643, v62, -v60
	v_fmamk_f32 v63, v62, 0x3f3d2fb0, v18
	v_add_f32_e32 v64, v32, v36
	v_mul_f32_e32 v65, 0xbf763a35, v59
	v_fma_f32 v18, 0x3f3d2fb0, v62, -v18
	v_add_f32_e32 v58, v61, v58
	v_add_f32_e32 v55, v60, v55
	v_mul_f32_e32 v61, 0x3f06c442, v59
	v_fmamk_f32 v60, v64, 0xbe8c1d8e, v65
	v_fma_f32 v62, 0xbe8c1d8e, v64, -v65
	v_add_f32_e32 v6, v18, v6
	v_mul_f32_e32 v18, 0x3f2c7751, v59
	v_add_f32_e32 v57, v63, v57
	v_add_f32_e32 v12, v60, v12
	v_fmamk_f32 v60, v64, 0xbf59a7d5, v61
	v_add_f32_e32 v7, v62, v7
	v_fma_f32 v61, 0xbf59a7d5, v64, -v61
	v_fmamk_f32 v62, v64, 0x3f3d2fb0, v18
	v_mul_f32_e32 v63, 0xbf65296c, v59
	v_fma_f32 v18, 0x3f3d2fb0, v64, -v18
	v_add_f32_e32 v10, v60, v10
	v_add_f32_e32 v9, v61, v9
	;; [unrolled: 1-line block ×3, first 2 shown]
	v_fmamk_f32 v60, v64, 0x3ee437d1, v63
	v_mul_f32_e32 v61, 0xbe3c28d5, v59
	v_add_f32_e32 v13, v18, v13
	v_fma_f32 v18, 0x3ee437d1, v64, -v63
	v_mul_f32_e32 v62, 0x3f7ee86f, v59
	v_add_f32_e32 v11, v60, v11
	v_fmamk_f32 v60, v64, 0xbf7ba420, v61
	v_fma_f32 v61, 0xbf7ba420, v64, -v61
	v_add_f32_e32 v15, v18, v15
	v_fmamk_f32 v18, v64, 0x3dbcf732, v62
	v_fma_f32 v62, 0x3dbcf732, v64, -v62
	v_add_f32_e32 v14, v60, v14
	v_mul_f32_e32 v60, 0xbeb8f4ab, v59
	v_add_f32_e32 v17, v61, v17
	v_add_f32_e32 v18, v18, v53
	v_sub_f32_e32 v53, v29, v34
	v_add_f32_e32 v16, v62, v16
	v_mul_f32_e32 v59, 0xbf4c4adb, v59
	v_fmamk_f32 v61, v64, 0x3f6eb680, v60
	v_fma_f32 v60, 0x3f6eb680, v64, -v60
	v_add_f32_e32 v62, v28, v30
	v_mul_f32_e32 v63, 0xbf4c4adb, v53
	v_fmamk_f32 v65, v64, 0xbf1a4643, v59
	v_fma_f32 v59, 0xbf1a4643, v64, -v59
	v_add_f32_e32 v55, v60, v55
	v_add_f32_e32 v58, v61, v58
	v_fmamk_f32 v60, v62, 0xbf1a4643, v63
	v_mul_f32_e32 v61, 0x3f763a35, v53
	v_add_f32_e32 v6, v59, v6
	v_fma_f32 v59, 0xbf1a4643, v62, -v63
	v_add_f32_e32 v5, v5, v50
	v_add_f32_e32 v12, v60, v12
	v_mul_f32_e32 v60, 0xbeb8f4ab, v53
	v_fmamk_f32 v63, v62, 0xbe8c1d8e, v61
	v_fma_f32 v61, 0xbe8c1d8e, v62, -v61
	v_add_f32_e32 v7, v59, v7
	v_mul_f32_e32 v59, 0xbf06c442, v53
	v_fmamk_f32 v64, v62, 0x3f6eb680, v60
	v_fma_f32 v60, 0x3f6eb680, v62, -v60
	v_add_f32_e32 v10, v63, v10
	v_add_f32_e32 v9, v61, v9
	v_fmamk_f32 v61, v62, 0xbf59a7d5, v59
	v_fma_f32 v59, 0xbf59a7d5, v62, -v59
	v_mul_f32_e32 v63, 0x3f7ee86f, v53
	v_add_f32_e32 v13, v60, v13
	v_mul_f32_e32 v60, 0xbf2c7751, v53
	v_add_f32_e32 v8, v64, v8
	v_add_f32_e32 v11, v61, v11
	;; [unrolled: 1-line block ×3, first 2 shown]
	v_fmamk_f32 v59, v62, 0x3dbcf732, v63
	v_fma_f32 v61, 0x3dbcf732, v62, -v63
	v_mul_f32_e32 v63, 0xbe3c28d5, v53
	v_fmamk_f32 v64, v62, 0x3f3d2fb0, v60
	v_fma_f32 v60, 0x3f3d2fb0, v62, -v60
	v_add_f32_e32 v14, v59, v14
	v_add_f32_e32 v17, v61, v17
	v_fmamk_f32 v59, v62, 0xbf7ba420, v63
	v_mul_f32_e32 v53, 0x3f65296c, v53
	v_add_f32_e32 v16, v60, v16
	v_sub_f32_e32 v60, v26, v27
	v_add_f32_e32 v61, v24, v25
	v_add_f32_e32 v58, v59, v58
	v_fma_f32 v59, 0xbf7ba420, v62, -v63
	v_add_f32_e32 v18, v64, v18
	v_mul_f32_e32 v63, 0xbf06c442, v60
	v_fmamk_f32 v64, v62, 0x3ee437d1, v53
	v_fma_f32 v53, 0x3ee437d1, v62, -v53
	v_add_f32_e32 v55, v59, v55
	v_mul_f32_e32 v59, 0x3f65296c, v60
	v_fmamk_f32 v62, v61, 0xbf59a7d5, v63
	v_add_f32_e32 v5, v5, v45
	v_add_f32_e32 v6, v53, v6
	v_fma_f32 v53, 0xbf59a7d5, v61, -v63
	v_fmamk_f32 v63, v61, 0x3ee437d1, v59
	v_add_f32_e32 v12, v62, v12
	v_fma_f32 v59, 0x3ee437d1, v61, -v59
	v_mul_f32_e32 v62, 0xbf7ee86f, v60
	v_add_f32_e32 v5, v5, v40
	v_add_f32_e32 v10, v63, v10
	v_mul_f32_e32 v63, 0xbeb8f4ab, v60
	v_add_f32_e32 v9, v59, v9
	v_fmamk_f32 v59, v61, 0x3dbcf732, v62
	v_add_f32_e32 v57, v65, v57
	v_add_f32_e32 v7, v53, v7
	v_mul_f32_e32 v53, 0x3f4c4adb, v60
	v_fma_f32 v62, 0x3dbcf732, v61, -v62
	v_add_f32_e32 v8, v59, v8
	v_fmamk_f32 v59, v61, 0x3f6eb680, v63
	v_add_f32_e32 v5, v5, v37
	v_add_f32_e32 v57, v64, v57
	v_fmamk_f32 v64, v61, 0xbf1a4643, v53
	v_fma_f32 v53, 0xbf1a4643, v61, -v53
	v_add_f32_e32 v13, v62, v13
	v_add_f32_e32 v14, v59, v14
	v_fma_f32 v59, 0x3f6eb680, v61, -v63
	v_mul_f32_e32 v62, 0x3f2c7751, v60
	v_add_f32_e32 v5, v5, v32
	v_add_f32_e32 v15, v53, v15
	v_mul_f32_e32 v53, 0xbe3c28d5, v60
	v_add_f32_e32 v17, v59, v17
	v_fmamk_f32 v59, v61, 0x3f3d2fb0, v62
	v_add_f32_e32 v5, v5, v28
	v_add_f32_e32 v11, v64, v11
	v_fmamk_f32 v63, v61, 0xbf7ba420, v53
	v_fma_f32 v53, 0xbf7ba420, v61, -v53
	v_add_f32_e32 v58, v59, v58
	v_sub_f32_e32 v59, v22, v23
	v_add_f32_e32 v5, v5, v24
	v_add_f32_e32 v18, v63, v18
	;; [unrolled: 1-line block ×3, first 2 shown]
	v_mul_f32_e32 v53, 0xbf763a35, v60
	v_fma_f32 v60, 0x3f3d2fb0, v61, -v62
	v_add_f32_e32 v63, v20, v21
	v_mul_f32_e32 v64, 0xbe3c28d5, v59
	v_add_f32_e32 v5, v5, v20
	v_fmamk_f32 v62, v61, 0xbe8c1d8e, v53
	v_add_f32_e32 v55, v60, v55
	v_fma_f32 v53, 0xbe8c1d8e, v61, -v53
	v_fmamk_f32 v60, v63, 0xbf7ba420, v64
	v_mul_f32_e32 v61, 0x3eb8f4ab, v59
	v_add_f32_e32 v5, v5, v21
	v_add_f32_e32 v57, v62, v57
	v_fma_f32 v62, 0xbf7ba420, v63, -v64
	v_add_f32_e32 v12, v60, v12
	v_fmamk_f32 v60, v63, 0x3f6eb680, v61
	v_add_f32_e32 v5, v5, v25
	v_add_f32_e32 v6, v53, v6
	;; [unrolled: 1-line block ×3, first 2 shown]
	v_mul_f32_e32 v7, 0xbf06c442, v59
	v_fma_f32 v61, 0x3f6eb680, v63, -v61
	v_add_f32_e32 v10, v60, v10
	v_mul_f32_e32 v60, 0x3f2c7751, v59
	v_add_f32_e32 v5, v5, v30
	v_fmamk_f32 v62, v63, 0xbf59a7d5, v7
	v_add_f32_e32 v9, v61, v9
	v_fma_f32 v7, 0xbf59a7d5, v63, -v7
	v_fmamk_f32 v61, v63, 0x3f3d2fb0, v60
	v_add_f32_e32 v5, v5, v36
	v_add_f32_e32 v8, v62, v8
	v_mul_f32_e32 v62, 0xbf4c4adb, v59
	v_add_f32_e32 v7, v7, v13
	v_add_f32_e32 v11, v61, v11
	v_fma_f32 v13, 0x3f3d2fb0, v63, -v60
	v_mul_f32_e32 v61, 0x3f65296c, v59
	v_add_f32_e32 v5, v5, v43
	v_fmamk_f32 v60, v63, 0xbf1a4643, v62
	v_fma_f32 v62, 0xbf1a4643, v63, -v62
	v_add_f32_e32 v13, v13, v15
	v_fmamk_f32 v15, v63, 0x3ee437d1, v61
	v_add_f32_e32 v5, v5, v46
	v_add_f32_e32 v14, v60, v14
	v_mul_f32_e32 v60, 0xbf763a35, v59
	v_fma_f32 v61, 0x3ee437d1, v63, -v61
	v_add_f32_e32 v15, v15, v18
	v_mul_f32_e32 v18, 0x3f7ee86f, v59
	v_add_f32_e32 v5, v5, v54
	v_fmamk_f32 v59, v63, 0xbe8c1d8e, v60
	v_add_f32_e32 v16, v61, v16
	v_fma_f32 v60, 0xbe8c1d8e, v63, -v60
	v_fmamk_f32 v61, v63, 0x3dbcf732, v18
	v_fma_f32 v18, 0x3dbcf732, v63, -v18
	v_add_f32_e32 v5, v5, v56
	v_add_f32_e32 v58, v59, v58
	;; [unrolled: 1-line block ×6, first 2 shown]
	ds_read_b32 v59, v33
	s_waitcnt lgkmcnt(0)
	s_barrier
	buffer_gl0_inv
	ds_write2_b32 v41, v5, v12 offset1:17
	ds_write2_b32 v41, v10, v8 offset0:34 offset1:51
	ds_write2_b32 v41, v11, v14 offset0:68 offset1:85
	;; [unrolled: 1-line block ×7, first 2 shown]
	ds_write_b32 v41, v53 offset:1088
	s_waitcnt lgkmcnt(0)
	s_barrier
	buffer_gl0_inv
	ds_read2_b32 v[9:10], v19 offset0:110 offset1:161
	ds_read2_b32 v[5:6], v1 offset0:34 offset1:68
	;; [unrolled: 1-line block ×7, first 2 shown]
	ds_read_b32 v57, v33
	ds_read_b32 v58, v1 offset:2108
                                        ; implicit-def: $vgpr55
	s_and_saveexec_b32 s1, s0
	s_cbranch_execz .LBB0_12
; %bb.11:
	ds_read_b32 v53, v1 offset:1088
	ds_read_b32 v55, v1 offset:2244
.LBB0_12:
	s_or_b32 exec_lo, exec_lo, s1
	v_add_f32_e32 v60, v59, v51
	v_sub_f32_e32 v50, v50, v56
	v_add_f32_e32 v56, v47, v52
	v_add_f32_e32 v51, v51, v48
	v_sub_f32_e32 v45, v45, v54
	v_add_f32_e32 v47, v60, v47
	v_sub_f32_e32 v40, v40, v46
	v_mul_f32_e32 v66, 0x3f3d2fb0, v56
	v_mul_f32_e32 v54, 0x3f6eb680, v51
	;; [unrolled: 1-line block ×3, first 2 shown]
	v_add_f32_e32 v47, v47, v42
	v_mul_f32_e32 v61, 0x3ee437d1, v51
	v_mul_f32_e32 v62, 0x3dbcf732, v51
	;; [unrolled: 1-line block ×4, first 2 shown]
	v_add_f32_e32 v47, v47, v38
	v_mul_f32_e32 v65, 0xbf59a7d5, v51
	v_mul_f32_e32 v51, 0xbf7ba420, v51
	v_fmamk_f32 v71, v50, 0x3eb8f4ab, v54
	v_fmac_f32_e32 v54, 0xbeb8f4ab, v50
	v_add_f32_e32 v47, v47, v35
	v_mul_f32_e32 v68, 0xbf1a4643, v56
	v_mul_f32_e32 v69, 0xbf7ba420, v56
	v_fmamk_f32 v72, v50, 0x3f2c7751, v60
	v_fmac_f32_e32 v60, 0xbf2c7751, v50
	v_add_f32_e32 v47, v47, v29
	v_fmamk_f32 v73, v50, 0x3f65296c, v61
	v_fmac_f32_e32 v61, 0xbf65296c, v50
	v_fmamk_f32 v74, v50, 0x3f7ee86f, v62
	v_fmac_f32_e32 v62, 0xbf7ee86f, v50
	v_add_f32_e32 v47, v47, v26
	v_fmamk_f32 v75, v50, 0x3f763a35, v63
	v_fmac_f32_e32 v63, 0xbf763a35, v50
	;; [unrolled: 5-line block ×4, first 2 shown]
	v_add_f32_e32 v54, v59, v54
	v_fmamk_f32 v80, v45, 0x3f4c4adb, v68
	v_add_f32_e32 v47, v47, v27
	v_fmac_f32_e32 v68, 0xbf4c4adb, v45
	v_add_f32_e32 v61, v59, v61
	v_add_f32_e32 v62, v59, v62
	v_mul_f32_e32 v67, 0x3dbcf732, v56
	v_add_f32_e32 v47, v47, v34
	v_mul_f32_e32 v70, 0xbf59a7d5, v56
	v_add_f32_e32 v64, v59, v64
	v_add_f32_e32 v61, v68, v61
	;; [unrolled: 1-line block ×4, first 2 shown]
	v_fmamk_f32 v79, v45, 0x3f7ee86f, v67
	v_fmac_f32_e32 v67, 0xbf7ee86f, v45
	v_add_f32_e32 v71, v59, v71
	v_add_f32_e32 v60, v59, v60
	;; [unrolled: 1-line block ×6, first 2 shown]
	v_mul_f32_e32 v46, 0x3ee437d1, v42
	v_add_f32_e32 v47, v47, v49
	v_add_f32_e32 v72, v59, v72
	;; [unrolled: 1-line block ×7, first 2 shown]
	v_mul_f32_e32 v66, 0xbe8c1d8e, v56
	v_add_f32_e32 v63, v59, v63
	v_add_f32_e32 v76, v59, v76
	;; [unrolled: 1-line block ×3, first 2 shown]
	v_fmamk_f32 v48, v45, 0x3e3c28d5, v69
	v_fmac_f32_e32 v69, 0xbe3c28d5, v45
	v_fmamk_f32 v68, v45, 0xbf763a35, v66
	v_fmac_f32_e32 v66, 0x3f763a35, v45
	v_add_f32_e32 v77, v59, v77
	v_add_f32_e32 v50, v50, v71
	;; [unrolled: 1-line block ×3, first 2 shown]
	v_mul_f32_e32 v69, 0x3ee437d1, v56
	v_mul_f32_e32 v56, 0x3f6eb680, v56
	v_add_f32_e32 v64, v66, v64
	v_add_f32_e32 v59, v67, v60
	v_fmamk_f32 v67, v45, 0xbf06c442, v70
	v_fmamk_f32 v49, v45, 0xbf65296c, v69
	v_fmac_f32_e32 v69, 0x3f65296c, v45
	v_fmamk_f32 v66, v45, 0xbeb8f4ab, v56
	v_fmac_f32_e32 v56, 0x3eb8f4ab, v45
	v_fmac_f32_e32 v70, 0x3f06c442, v45
	v_add_f32_e32 v54, v79, v72
	v_add_f32_e32 v45, v69, v65
	;; [unrolled: 1-line block ×3, first 2 shown]
	v_fmamk_f32 v66, v40, 0x3f65296c, v46
	v_mul_f32_e32 v69, 0xbf1a4643, v42
	v_add_f32_e32 v51, v56, v51
	v_fmac_f32_e32 v46, 0xbf65296c, v40
	v_mul_f32_e32 v56, 0xbf7ba420, v42
	v_add_f32_e32 v60, v80, v73
	v_add_f32_e32 v63, v70, v63
	;; [unrolled: 1-line block ×3, first 2 shown]
	v_fmamk_f32 v66, v40, 0x3f4c4adb, v69
	v_add_f32_e32 v46, v46, v52
	v_fmamk_f32 v52, v40, 0xbe3c28d5, v56
	v_mul_f32_e32 v70, 0xbe8c1d8e, v42
	v_add_f32_e32 v48, v48, v74
	v_add_f32_e32 v54, v66, v54
	v_mul_f32_e32 v66, 0x3f3d2fb0, v42
	v_add_f32_e32 v52, v52, v60
	v_fmamk_f32 v60, v40, 0xbf763a35, v70
	v_fmac_f32_e32 v70, 0x3f763a35, v40
	v_add_f32_e32 v67, v67, v75
	v_fmac_f32_e32 v56, 0x3e3c28d5, v40
	v_add_f32_e32 v49, v49, v77
	v_add_f32_e32 v48, v60, v48
	v_fmamk_f32 v60, v40, 0xbf2c7751, v66
	v_add_f32_e32 v62, v70, v62
	v_mul_f32_e32 v70, 0x3dbcf732, v42
	v_fmac_f32_e32 v69, 0xbf4c4adb, v40
	v_add_f32_e32 v56, v56, v61
	v_mul_f32_e32 v61, 0x3f6eb680, v42
	v_add_f32_e32 v60, v60, v67
	v_fmamk_f32 v67, v40, 0x3f7ee86f, v70
	v_mul_f32_e32 v42, 0xbf59a7d5, v42
	v_add_f32_e32 v38, v38, v44
	v_add_f32_e32 v59, v69, v59
	v_fmamk_f32 v69, v40, 0x3eb8f4ab, v61
	v_fmac_f32_e32 v61, 0xbeb8f4ab, v40
	v_add_f32_e32 v44, v67, v49
	v_fmamk_f32 v49, v40, 0x3f06c442, v42
	v_sub_f32_e32 v37, v37, v43
	v_mul_f32_e32 v43, 0x3dbcf732, v38
	v_fmac_f32_e32 v42, 0xbf06c442, v40
	v_add_f32_e32 v61, v61, v64
	v_fmac_f32_e32 v66, 0x3f2c7751, v40
	v_fmac_f32_e32 v70, 0xbf7ee86f, v40
	v_fmamk_f32 v64, v37, 0x3f7ee86f, v43
	v_fmac_f32_e32 v43, 0xbf7ee86f, v37
	v_add_f32_e32 v42, v42, v51
	v_mul_f32_e32 v51, 0xbe8c1d8e, v38
	v_add_f32_e32 v40, v49, v65
	v_mul_f32_e32 v49, 0xbf7ba420, v38
	v_add_f32_e32 v43, v43, v46
	v_add_f32_e32 v50, v64, v50
	v_fmamk_f32 v46, v37, 0xbf763a35, v51
	v_mul_f32_e32 v64, 0x3f6eb680, v38
	v_fmamk_f32 v65, v37, 0x3e3c28d5, v49
	v_fmac_f32_e32 v49, 0xbe3c28d5, v37
	v_fmac_f32_e32 v51, 0x3f763a35, v37
	v_add_f32_e32 v46, v46, v52
	v_mul_f32_e32 v52, 0x3ee437d1, v38
	v_add_f32_e32 v63, v66, v63
	v_add_f32_e32 v54, v65, v54
	;; [unrolled: 1-line block ×3, first 2 shown]
	v_fmamk_f32 v59, v37, 0xbeb8f4ab, v64
	v_add_f32_e32 v51, v51, v56
	v_fmac_f32_e32 v64, 0x3eb8f4ab, v37
	v_mul_f32_e32 v56, 0xbf59a7d5, v38
	v_fmamk_f32 v65, v37, 0x3f65296c, v52
	v_fmac_f32_e32 v52, 0xbf65296c, v37
	v_add_f32_e32 v48, v59, v48
	v_add_f32_e32 v59, v64, v62
	v_fmamk_f32 v62, v37, 0x3f06c442, v56
	v_fmac_f32_e32 v56, 0xbf06c442, v37
	v_add_f32_e32 v52, v52, v63
	v_mul_f32_e32 v63, 0xbf1a4643, v38
	v_mul_f32_e32 v38, 0x3f3d2fb0, v38
	v_add_f32_e32 v35, v35, v39
	v_add_f32_e32 v45, v70, v45
	v_add_f32_e32 v56, v56, v61
	v_fmamk_f32 v39, v37, 0xbf4c4adb, v63
	v_fmac_f32_e32 v63, 0x3f4c4adb, v37
	v_fmamk_f32 v61, v37, 0xbf2c7751, v38
	v_sub_f32_e32 v32, v32, v36
	v_mul_f32_e32 v36, 0xbe8c1d8e, v35
	v_fmac_f32_e32 v38, 0x3f2c7751, v37
	v_add_f32_e32 v39, v39, v44
	v_add_f32_e32 v37, v63, v45
	v_mul_f32_e32 v45, 0xbf59a7d5, v35
	v_fmamk_f32 v44, v32, 0x3f763a35, v36
	v_add_f32_e32 v38, v38, v42
	v_fmac_f32_e32 v36, 0xbf763a35, v32
	v_mul_f32_e32 v42, 0x3f3d2fb0, v35
	v_add_f32_e32 v68, v68, v76
	v_add_f32_e32 v40, v61, v40
	;; [unrolled: 1-line block ×3, first 2 shown]
	v_fmamk_f32 v50, v32, 0xbf06c442, v45
	v_fmac_f32_e32 v45, 0x3f06c442, v32
	v_add_f32_e32 v36, v36, v43
	v_fmamk_f32 v43, v32, 0xbf2c7751, v42
	v_mul_f32_e32 v61, 0x3ee437d1, v35
	v_fmac_f32_e32 v42, 0x3f2c7751, v32
	v_add_f32_e32 v66, v69, v68
	v_add_f32_e32 v45, v45, v49
	;; [unrolled: 1-line block ×3, first 2 shown]
	v_fmamk_f32 v46, v32, 0x3f65296c, v61
	v_mul_f32_e32 v49, 0xbf7ba420, v35
	v_fmac_f32_e32 v61, 0xbf65296c, v32
	v_add_f32_e32 v42, v42, v51
	v_mul_f32_e32 v51, 0x3dbcf732, v35
	v_add_f32_e32 v62, v62, v66
	v_add_f32_e32 v50, v50, v54
	;; [unrolled: 1-line block ×3, first 2 shown]
	v_fmamk_f32 v48, v32, 0x3e3c28d5, v49
	v_add_f32_e32 v54, v61, v59
	v_fmac_f32_e32 v49, 0xbe3c28d5, v32
	v_fmamk_f32 v59, v32, 0xbf7ee86f, v51
	v_mul_f32_e32 v61, 0x3f6eb680, v35
	v_mul_f32_e32 v35, 0xbf1a4643, v35
	v_add_f32_e32 v29, v29, v34
	v_add_f32_e32 v49, v49, v52
	;; [unrolled: 1-line block ×3, first 2 shown]
	v_fmamk_f32 v59, v32, 0x3eb8f4ab, v61
	v_sub_f32_e32 v28, v28, v30
	v_mul_f32_e32 v30, 0xbf1a4643, v29
	v_fmac_f32_e32 v51, 0x3f7ee86f, v32
	v_fmac_f32_e32 v61, 0xbeb8f4ab, v32
	v_add_f32_e32 v34, v59, v39
	v_fmamk_f32 v39, v32, 0x3f4c4adb, v35
	v_fmac_f32_e32 v35, 0xbf4c4adb, v32
	v_add_f32_e32 v51, v51, v56
	v_add_f32_e32 v26, v26, v27
	;; [unrolled: 1-line block ×4, first 2 shown]
	v_mul_f32_e32 v39, 0xbe8c1d8e, v29
	v_fmamk_f32 v40, v28, 0x3f4c4adb, v30
	v_fmac_f32_e32 v30, 0xbf4c4adb, v28
	v_add_f32_e32 v35, v35, v38
	v_mul_f32_e32 v38, 0x3f6eb680, v29
	v_fmamk_f32 v56, v28, 0xbf763a35, v39
	v_add_f32_e32 v40, v40, v44
	v_add_f32_e32 v30, v30, v36
	v_fmac_f32_e32 v39, 0x3f763a35, v28
	v_fmamk_f32 v36, v28, 0x3eb8f4ab, v38
	v_add_f32_e32 v44, v56, v50
	v_mul_f32_e32 v50, 0xbf59a7d5, v29
	v_fmac_f32_e32 v38, 0xbeb8f4ab, v28
	v_add_f32_e32 v39, v39, v45
	v_add_f32_e32 v36, v36, v43
	v_mul_f32_e32 v43, 0x3dbcf732, v29
	v_fmamk_f32 v45, v28, 0x3f06c442, v50
	v_add_f32_e32 v38, v38, v42
	v_fmac_f32_e32 v50, 0xbf06c442, v28
	v_mul_f32_e32 v42, 0x3f3d2fb0, v29
	v_fmamk_f32 v56, v28, 0xbf7ee86f, v43
	v_fmac_f32_e32 v43, 0x3f7ee86f, v28
	v_add_f32_e32 v45, v45, v46
	v_add_f32_e32 v46, v50, v54
	v_fmamk_f32 v50, v28, 0x3f2c7751, v42
	v_fmac_f32_e32 v42, 0xbf2c7751, v28
	v_add_f32_e32 v43, v43, v49
	v_mul_f32_e32 v49, 0xbf7ba420, v29
	v_mul_f32_e32 v29, 0x3ee437d1, v29
	v_sub_f32_e32 v24, v24, v25
	v_add_f32_e32 v42, v42, v51
	v_mul_f32_e32 v25, 0xbf59a7d5, v26
	v_fmamk_f32 v27, v28, 0x3e3c28d5, v49
	v_fmac_f32_e32 v49, 0xbe3c28d5, v28
	v_fmamk_f32 v51, v28, 0xbf65296c, v29
	v_fmac_f32_e32 v29, 0x3f65296c, v28
	v_add_f32_e32 v50, v50, v52
	v_add_f32_e32 v27, v27, v34
	;; [unrolled: 1-line block ×3, first 2 shown]
	v_fmamk_f32 v34, v24, 0x3f06c442, v25
	v_mul_f32_e32 v37, 0x3ee437d1, v26
	v_add_f32_e32 v29, v29, v35
	v_fmac_f32_e32 v25, 0xbf06c442, v24
	v_mul_f32_e32 v35, 0x3dbcf732, v26
	v_add_f32_e32 v34, v34, v40
	v_fmamk_f32 v40, v24, 0xbf65296c, v37
	v_fmac_f32_e32 v37, 0x3f65296c, v24
	v_add_f32_e32 v25, v25, v30
	v_fmamk_f32 v30, v24, 0x3f7ee86f, v35
	v_mul_f32_e32 v49, 0xbf1a4643, v26
	v_fmac_f32_e32 v35, 0xbf7ee86f, v24
	v_add_f32_e32 v37, v37, v39
	v_mul_f32_e32 v39, 0x3f6eb680, v26
	v_add_f32_e32 v30, v30, v36
	v_fmamk_f32 v36, v24, 0xbf4c4adb, v49
	v_fmac_f32_e32 v49, 0x3f4c4adb, v24
	v_add_f32_e32 v38, v35, v38
	v_mul_f32_e32 v35, 0xbf7ba420, v26
	v_add_f32_e32 v40, v40, v44
	v_add_f32_e32 v36, v36, v45
	v_fmamk_f32 v44, v24, 0x3eb8f4ab, v39
	v_add_f32_e32 v45, v49, v46
	v_fmac_f32_e32 v39, 0xbeb8f4ab, v24
	v_fmamk_f32 v46, v24, 0x3e3c28d5, v35
	v_mul_f32_e32 v49, 0x3f3d2fb0, v26
	v_mul_f32_e32 v26, 0xbe8c1d8e, v26
	v_add_f32_e32 v22, v22, v23
	v_add_f32_e32 v39, v39, v43
	;; [unrolled: 1-line block ×3, first 2 shown]
	v_fmamk_f32 v46, v24, 0xbf2c7751, v49
	v_add_f32_e32 v32, v51, v32
	v_sub_f32_e32 v20, v20, v21
	v_mul_f32_e32 v21, 0xbf7ba420, v22
	v_add_f32_e32 v60, v65, v60
	v_add_f32_e32 v23, v46, v27
	v_fmamk_f32 v27, v24, 0x3f763a35, v26
	v_fmac_f32_e32 v26, 0xbf763a35, v24
	v_fmac_f32_e32 v35, 0xbe3c28d5, v24
	;; [unrolled: 1-line block ×3, first 2 shown]
	v_add_f32_e32 v48, v48, v60
	v_add_f32_e32 v24, v27, v32
	v_fmamk_f32 v32, v20, 0x3e3c28d5, v21
	v_fmac_f32_e32 v21, 0xbe3c28d5, v20
	v_add_f32_e32 v26, v26, v29
	v_mul_f32_e32 v29, 0xbf59a7d5, v22
	v_add_f32_e32 v42, v35, v42
	v_mul_f32_e32 v27, 0x3f6eb680, v22
	v_add_f32_e32 v35, v21, v25
	v_add_f32_e32 v48, v56, v48
	v_fmamk_f32 v21, v20, 0x3f06c442, v29
	v_add_f32_e32 v32, v32, v34
	v_fmamk_f32 v46, v20, 0xbeb8f4ab, v27
	v_fmac_f32_e32 v27, 0x3eb8f4ab, v20
	v_mul_f32_e32 v34, 0x3f3d2fb0, v22
	v_add_f32_e32 v21, v21, v30
	v_mul_f32_e32 v30, 0xbf1a4643, v22
	v_fmac_f32_e32 v29, 0xbf06c442, v20
	v_add_f32_e32 v44, v44, v48
	v_add_f32_e32 v25, v46, v40
	;; [unrolled: 1-line block ×3, first 2 shown]
	v_fmamk_f32 v40, v20, 0x3f4c4adb, v30
	v_fmamk_f32 v37, v20, 0xbf2c7751, v34
	v_add_f32_e32 v29, v29, v38
	v_mul_f32_e32 v38, 0x3ee437d1, v22
	v_fmac_f32_e32 v30, 0xbf4c4adb, v20
	v_add_f32_e32 v40, v40, v44
	v_mul_f32_e32 v44, 0xbe8c1d8e, v22
	v_add_f32_e32 v36, v37, v36
	v_fmamk_f32 v37, v20, 0xbf65296c, v38
	v_mul_f32_e32 v22, 0x3dbcf732, v22
	v_add_f32_e32 v30, v30, v39
	v_fmamk_f32 v39, v20, 0x3f763a35, v44
	v_add_f32_e32 v28, v49, v28
	v_add_f32_e32 v37, v37, v43
	v_fmac_f32_e32 v38, 0x3f65296c, v20
	v_fmac_f32_e32 v44, 0xbf763a35, v20
	v_fmamk_f32 v43, v20, 0xbf7ee86f, v22
	v_fmac_f32_e32 v22, 0x3f7ee86f, v20
	v_fmac_f32_e32 v34, 0x3f2c7751, v20
	v_add_f32_e32 v23, v39, v23
	v_add_f32_e32 v20, v38, v42
	;; [unrolled: 1-line block ×6, first 2 shown]
	s_waitcnt lgkmcnt(0)
	s_barrier
	buffer_gl0_inv
	ds_write2_b32 v41, v47, v32 offset1:17
	ds_write2_b32 v41, v25, v21 offset0:34 offset1:51
	ds_write2_b32 v41, v36, v40 offset0:68 offset1:85
	;; [unrolled: 1-line block ×7, first 2 shown]
	ds_write_b32 v41, v35 offset:1088
	s_waitcnt lgkmcnt(0)
	s_barrier
	buffer_gl0_inv
	ds_read2_b32 v[23:24], v19 offset0:110 offset1:161
	ds_read2_b32 v[19:20], v1 offset0:34 offset1:68
	;; [unrolled: 1-line block ×7, first 2 shown]
	ds_read_b32 v37, v33
	ds_read_b32 v38, v1 offset:2108
                                        ; implicit-def: $vgpr36
	s_and_saveexec_b32 s1, s0
	s_cbranch_execz .LBB0_14
; %bb.13:
	ds_read_b32 v35, v1 offset:1088
	ds_read_b32 v36, v1 offset:2244
	v_add_nc_u32_e32 v4, 0x110, v0
.LBB0_14:
	s_or_b32 exec_lo, exec_lo, s1
	s_and_saveexec_b32 s1, vcc_lo
	s_cbranch_execz .LBB0_17
; %bb.15:
	v_mov_b32_e32 v1, 0
	v_add_nc_u32_e32 v54, 0xcc, v0
	v_lshlrev_b64 v[33:34], 3, v[0:1]
	v_add_nc_u32_e32 v0, 0xee, v0
	v_mul_hi_u32 v54, 0xe2c4a689, v54
	v_mov_b32_e32 v62, v1
	v_mul_hi_u32 v0, 0xe2c4a689, v0
	v_add_co_u32 v39, vcc_lo, s8, v33
	v_add_co_ci_u32_e32 v40, vcc_lo, s9, v34, vcc_lo
	v_lshrrev_b32_e32 v54, 8, v54
	v_add_co_u32 v39, vcc_lo, 0x800, v39
	v_add_co_ci_u32_e32 v40, vcc_lo, 0, v40, vcc_lo
	v_lshrrev_b32_e32 v0, 8, v0
	v_add_co_u32 v2, vcc_lo, s2, v2
	s_clause 0x7
	global_load_dwordx2 v[41:42], v[39:40], off offset:2032
	global_load_dwordx2 v[43:44], v[39:40], off offset:1760
	;; [unrolled: 1-line block ×8, first 2 shown]
	v_add_co_ci_u32_e32 v3, vcc_lo, s3, v3, vcc_lo
	v_mul_u32_u24_e32 v61, 0x121, v54
	v_mul_u32_u24_e32 v0, 0x121, v0
	v_add_co_u32 v2, vcc_lo, v2, v33
	v_add_co_ci_u32_e32 v3, vcc_lo, v3, v34, vcc_lo
	v_lshlrev_b64 v[61:62], 3, v[61:62]
	v_lshlrev_b64 v[63:64], 3, v[0:1]
	v_add_co_u32 v33, vcc_lo, 0x800, v2
	v_add_co_ci_u32_e32 v34, vcc_lo, 0, v3, vcc_lo
	v_add_co_u32 v61, vcc_lo, v2, v61
	v_add_co_ci_u32_e32 v62, vcc_lo, v3, v62, vcc_lo
	;; [unrolled: 2-line block ×5, first 2 shown]
	s_waitcnt vmcnt(7)
	v_mul_f32_e32 v0, v58, v42
	s_waitcnt lgkmcnt(0)
	v_mul_f32_e32 v42, v38, v42
	s_waitcnt vmcnt(6)
	v_mul_f32_e32 v54, v18, v44
	v_mul_f32_e32 v44, v32, v44
	s_waitcnt vmcnt(5)
	v_mul_f32_e32 v56, v17, v46
	;; [unrolled: 3-line block ×7, first 2 shown]
	v_mul_f32_e32 v40, v24, v40
	v_fma_f32 v0, v38, v41, -v0
	v_fmac_f32_e32 v42, v58, v41
	v_fma_f32 v32, v32, v43, -v54
	v_fmac_f32_e32 v44, v18, v43
	;; [unrolled: 2-line block ×8, first 2 shown]
	v_sub_f32_e32 v14, v23, v0
	v_sub_f32_e32 v13, v9, v42
	;; [unrolled: 1-line block ×16, first 2 shown]
	v_fma_f32 v10, v23, 2.0, -v14
	v_fma_f32 v9, v9, 2.0, -v13
	;; [unrolled: 1-line block ×16, first 2 shown]
	global_store_dwordx2 v[33:34], v[40:41], off offset:264
	global_store_dwordx2 v[33:34], v[38:39], off offset:536
	;; [unrolled: 1-line block ×7, first 2 shown]
	global_store_dwordx2 v[2:3], v[42:43], off
	global_store_dwordx2 v[2:3], v[5:6], off offset:272
	global_store_dwordx2 v[2:3], v[20:21], off offset:544
	global_store_dwordx2 v[2:3], v[7:8], off offset:816
	global_store_dwordx2 v[2:3], v[25:26], off offset:1088
	global_store_dwordx2 v[2:3], v[11:12], off offset:1360
	global_store_dwordx2 v[61:62], v[23:24], off offset:1632
	global_store_dwordx2 v[63:64], v[9:10], off offset:1904
	global_store_dwordx2 v[67:68], v[13:14], off offset:120
	s_and_b32 exec_lo, exec_lo, s0
	s_cbranch_execz .LBB0_17
; %bb.16:
	v_mov_b32_e32 v5, v1
	v_lshlrev_b64 v[0:1], 3, v[4:5]
	v_add_co_u32 v0, vcc_lo, s8, v0
	v_add_co_ci_u32_e32 v1, vcc_lo, s9, v1, vcc_lo
	v_add_co_u32 v0, vcc_lo, 0x800, v0
	v_add_co_ci_u32_e32 v1, vcc_lo, 0, v1, vcc_lo
	;; [unrolled: 2-line block ×3, first 2 shown]
	global_load_dwordx2 v[0:1], v[0:1], off offset:128
	s_waitcnt vmcnt(0)
	v_mul_f32_e32 v4, v36, v1
	v_mul_f32_e32 v1, v55, v1
	v_fmac_f32_e32 v4, v55, v0
	v_fma_f32 v1, v36, v0, -v1
	v_sub_f32_e32 v0, v53, v4
	v_sub_f32_e32 v1, v35, v1
	v_fma_f32 v4, v53, 2.0, -v0
	v_fma_f32 v5, v35, 2.0, -v1
	global_store_dwordx2 v[33:34], v[4:5], off offset:128
	global_store_dwordx2 v[2:3], v[0:1], off offset:392
.LBB0_17:
	s_endpgm
	.section	.rodata,"a",@progbits
	.p2align	6, 0x0
	.amdhsa_kernel fft_rtc_back_len578_factors_17_17_2_wgs_238_tpt_34_halfLds_sp_ip_CI_unitstride_sbrr_dirReg
		.amdhsa_group_segment_fixed_size 0
		.amdhsa_private_segment_fixed_size 0
		.amdhsa_kernarg_size 88
		.amdhsa_user_sgpr_count 6
		.amdhsa_user_sgpr_private_segment_buffer 1
		.amdhsa_user_sgpr_dispatch_ptr 0
		.amdhsa_user_sgpr_queue_ptr 0
		.amdhsa_user_sgpr_kernarg_segment_ptr 1
		.amdhsa_user_sgpr_dispatch_id 0
		.amdhsa_user_sgpr_flat_scratch_init 0
		.amdhsa_user_sgpr_private_segment_size 0
		.amdhsa_wavefront_size32 1
		.amdhsa_uses_dynamic_stack 0
		.amdhsa_system_sgpr_private_segment_wavefront_offset 0
		.amdhsa_system_sgpr_workgroup_id_x 1
		.amdhsa_system_sgpr_workgroup_id_y 0
		.amdhsa_system_sgpr_workgroup_id_z 0
		.amdhsa_system_sgpr_workgroup_info 0
		.amdhsa_system_vgpr_workitem_id 0
		.amdhsa_next_free_vgpr 82
		.amdhsa_next_free_sgpr 21
		.amdhsa_reserve_vcc 1
		.amdhsa_reserve_flat_scratch 0
		.amdhsa_float_round_mode_32 0
		.amdhsa_float_round_mode_16_64 0
		.amdhsa_float_denorm_mode_32 3
		.amdhsa_float_denorm_mode_16_64 3
		.amdhsa_dx10_clamp 1
		.amdhsa_ieee_mode 1
		.amdhsa_fp16_overflow 0
		.amdhsa_workgroup_processor_mode 1
		.amdhsa_memory_ordered 1
		.amdhsa_forward_progress 0
		.amdhsa_shared_vgpr_count 0
		.amdhsa_exception_fp_ieee_invalid_op 0
		.amdhsa_exception_fp_denorm_src 0
		.amdhsa_exception_fp_ieee_div_zero 0
		.amdhsa_exception_fp_ieee_overflow 0
		.amdhsa_exception_fp_ieee_underflow 0
		.amdhsa_exception_fp_ieee_inexact 0
		.amdhsa_exception_int_div_zero 0
	.end_amdhsa_kernel
	.text
.Lfunc_end0:
	.size	fft_rtc_back_len578_factors_17_17_2_wgs_238_tpt_34_halfLds_sp_ip_CI_unitstride_sbrr_dirReg, .Lfunc_end0-fft_rtc_back_len578_factors_17_17_2_wgs_238_tpt_34_halfLds_sp_ip_CI_unitstride_sbrr_dirReg
                                        ; -- End function
	.section	.AMDGPU.csdata,"",@progbits
; Kernel info:
; codeLenInByte = 13216
; NumSgprs: 23
; NumVgprs: 82
; ScratchSize: 0
; MemoryBound: 0
; FloatMode: 240
; IeeeMode: 1
; LDSByteSize: 0 bytes/workgroup (compile time only)
; SGPRBlocks: 2
; VGPRBlocks: 10
; NumSGPRsForWavesPerEU: 23
; NumVGPRsForWavesPerEU: 82
; Occupancy: 10
; WaveLimiterHint : 1
; COMPUTE_PGM_RSRC2:SCRATCH_EN: 0
; COMPUTE_PGM_RSRC2:USER_SGPR: 6
; COMPUTE_PGM_RSRC2:TRAP_HANDLER: 0
; COMPUTE_PGM_RSRC2:TGID_X_EN: 1
; COMPUTE_PGM_RSRC2:TGID_Y_EN: 0
; COMPUTE_PGM_RSRC2:TGID_Z_EN: 0
; COMPUTE_PGM_RSRC2:TIDIG_COMP_CNT: 0
	.text
	.p2alignl 6, 3214868480
	.fill 48, 4, 3214868480
	.type	__hip_cuid_7240e1ffea1550b9,@object ; @__hip_cuid_7240e1ffea1550b9
	.section	.bss,"aw",@nobits
	.globl	__hip_cuid_7240e1ffea1550b9
__hip_cuid_7240e1ffea1550b9:
	.byte	0                               ; 0x0
	.size	__hip_cuid_7240e1ffea1550b9, 1

	.ident	"AMD clang version 19.0.0git (https://github.com/RadeonOpenCompute/llvm-project roc-6.4.0 25133 c7fe45cf4b819c5991fe208aaa96edf142730f1d)"
	.section	".note.GNU-stack","",@progbits
	.addrsig
	.addrsig_sym __hip_cuid_7240e1ffea1550b9
	.amdgpu_metadata
---
amdhsa.kernels:
  - .args:
      - .actual_access:  read_only
        .address_space:  global
        .offset:         0
        .size:           8
        .value_kind:     global_buffer
      - .offset:         8
        .size:           8
        .value_kind:     by_value
      - .actual_access:  read_only
        .address_space:  global
        .offset:         16
        .size:           8
        .value_kind:     global_buffer
      - .actual_access:  read_only
        .address_space:  global
        .offset:         24
        .size:           8
        .value_kind:     global_buffer
      - .offset:         32
        .size:           8
        .value_kind:     by_value
      - .actual_access:  read_only
        .address_space:  global
        .offset:         40
        .size:           8
        .value_kind:     global_buffer
      - .actual_access:  read_only
        .address_space:  global
        .offset:         48
        .size:           8
        .value_kind:     global_buffer
      - .offset:         56
        .size:           4
        .value_kind:     by_value
      - .actual_access:  read_only
        .address_space:  global
        .offset:         64
        .size:           8
        .value_kind:     global_buffer
      - .actual_access:  read_only
        .address_space:  global
        .offset:         72
        .size:           8
        .value_kind:     global_buffer
      - .address_space:  global
        .offset:         80
        .size:           8
        .value_kind:     global_buffer
    .group_segment_fixed_size: 0
    .kernarg_segment_align: 8
    .kernarg_segment_size: 88
    .language:       OpenCL C
    .language_version:
      - 2
      - 0
    .max_flat_workgroup_size: 238
    .name:           fft_rtc_back_len578_factors_17_17_2_wgs_238_tpt_34_halfLds_sp_ip_CI_unitstride_sbrr_dirReg
    .private_segment_fixed_size: 0
    .sgpr_count:     23
    .sgpr_spill_count: 0
    .symbol:         fft_rtc_back_len578_factors_17_17_2_wgs_238_tpt_34_halfLds_sp_ip_CI_unitstride_sbrr_dirReg.kd
    .uniform_work_group_size: 1
    .uses_dynamic_stack: false
    .vgpr_count:     82
    .vgpr_spill_count: 0
    .wavefront_size: 32
    .workgroup_processor_mode: 1
amdhsa.target:   amdgcn-amd-amdhsa--gfx1030
amdhsa.version:
  - 1
  - 2
...

	.end_amdgpu_metadata
